;; amdgpu-corpus repo=ROCm/rocFFT kind=compiled arch=gfx1030 opt=O3
	.text
	.amdgcn_target "amdgcn-amd-amdhsa--gfx1030"
	.amdhsa_code_object_version 6
	.protected	bluestein_single_back_len780_dim1_sp_op_CI_CI ; -- Begin function bluestein_single_back_len780_dim1_sp_op_CI_CI
	.globl	bluestein_single_back_len780_dim1_sp_op_CI_CI
	.p2align	8
	.type	bluestein_single_back_len780_dim1_sp_op_CI_CI,@function
bluestein_single_back_len780_dim1_sp_op_CI_CI: ; @bluestein_single_back_len780_dim1_sp_op_CI_CI
; %bb.0:
	s_load_dwordx4 s[8:11], s[4:5], 0x28
	v_mul_u32_u24_e32 v1, 0x349, v0
	v_lshrrev_b32_e32 v1, 16, v1
	v_mad_u64_u32 v[62:63], null, s6, 3, v[1:2]
	v_mov_b32_e32 v63, 0
                                        ; kill: def $vgpr2 killed $sgpr0 killed $exec
	s_mov_b32 s0, exec_lo
	s_waitcnt lgkmcnt(0)
	v_cmpx_gt_u64_e64 s[8:9], v[62:63]
	s_cbranch_execz .LBB0_18
; %bb.1:
	s_clause 0x1
	s_load_dwordx4 s[0:3], s[4:5], 0x18
	s_load_dwordx4 s[12:15], s[4:5], 0x0
	v_mul_lo_u16 v1, 0x4e, v1
	v_sub_nc_u16 v27, v0, v1
	v_and_b32_e32 v93, 0xffff, v27
	v_lshlrev_b16 v24, 1, v27
	v_lshlrev_b32_e32 v54, 3, v93
	s_waitcnt lgkmcnt(0)
	s_load_dwordx4 s[16:19], s[0:1], 0x0
	s_clause 0x3
	global_load_dwordx2 v[71:72], v54, s[12:13]
	global_load_dwordx2 v[69:70], v54, s[12:13] offset:624
	global_load_dwordx2 v[56:57], v54, s[12:13] offset:1248
	;; [unrolled: 1-line block ×3, first 2 shown]
	v_add_co_u32 v9, s0, s12, v54
	v_add_co_ci_u32_e64 v10, null, s13, 0, s0
	v_add_co_u32 v4, vcc_lo, 0x800, v9
	v_add_co_ci_u32_e32 v5, vcc_lo, 0, v10, vcc_lo
	s_clause 0x1
	global_load_dwordx2 v[75:76], v[4:5], off offset:1072
	global_load_dwordx2 v[73:74], v[4:5], off offset:1696
	s_waitcnt lgkmcnt(0)
	v_mad_u64_u32 v[0:1], null, s18, v62, 0
	v_mad_u64_u32 v[2:3], null, s16, v93, 0
	s_mul_i32 s0, s17, 0xc30
	s_mul_hi_u32 s1, s16, 0xc30
	s_mul_i32 s6, s16, 0xc30
	s_add_i32 s1, s1, s0
	s_mul_hi_u32 s8, s16, 0xfffff640
	s_mul_i32 s7, s17, 0xfffff640
	v_mad_u64_u32 v[6:7], null, s19, v62, v[1:2]
	v_mad_u64_u32 v[7:8], null, s17, v93, v[3:4]
	v_add_co_u32 v8, vcc_lo, 0x1000, v9
	v_add_co_ci_u32_e32 v9, vcc_lo, 0, v10, vcc_lo
	v_mov_b32_e32 v1, v6
	s_mul_i32 s9, s16, 0xfffff640
	v_mov_b32_e32 v3, v7
	s_sub_i32 s0, s8, s16
	s_clause 0x1
	global_load_dwordx2 v[63:64], v[8:9], off offset:272
	global_load_dwordx2 v[58:59], v[8:9], off offset:896
	v_lshlrev_b64 v[0:1], 3, v[0:1]
	s_add_i32 s0, s0, s7
	v_lshlrev_b64 v[2:3], 3, v[2:3]
	v_add_co_u32 v0, vcc_lo, s10, v0
	v_add_co_ci_u32_e32 v1, vcc_lo, s11, v1, vcc_lo
	v_add_co_u32 v0, vcc_lo, v0, v2
	v_add_co_ci_u32_e32 v1, vcc_lo, v1, v3, vcc_lo
	;; [unrolled: 2-line block ×4, first 2 shown]
	s_clause 0x1
	global_load_dwordx2 v[0:1], v[0:1], off
	global_load_dwordx2 v[2:3], v[2:3], off
	v_add_co_u32 v10, vcc_lo, v6, s6
	v_add_co_ci_u32_e32 v11, vcc_lo, s1, v7, vcc_lo
	global_load_dwordx2 v[6:7], v[6:7], off
	v_add_co_u32 v12, vcc_lo, v10, s9
	v_add_co_ci_u32_e32 v13, vcc_lo, s0, v11, vcc_lo
	v_add_co_u32 v14, vcc_lo, v12, s6
	v_add_co_ci_u32_e32 v15, vcc_lo, s1, v13, vcc_lo
	s_clause 0x1
	global_load_dwordx2 v[10:11], v[10:11], off
	global_load_dwordx2 v[12:13], v[12:13], off
	v_add_co_u32 v16, vcc_lo, v14, s9
	v_add_co_ci_u32_e32 v17, vcc_lo, s0, v15, vcc_lo
	global_load_dwordx2 v[14:15], v[14:15], off
	v_add_co_u32 v18, vcc_lo, v16, s6
	v_add_co_ci_u32_e32 v19, vcc_lo, s1, v17, vcc_lo
	;; [unrolled: 3-line block ×4, first 2 shown]
	global_load_dwordx2 v[65:66], v[4:5], off offset:448
	global_load_dwordx2 v[4:5], v[20:21], off
	global_load_dwordx2 v[67:68], v[8:9], off offset:1520
	global_load_dwordx2 v[8:9], v[22:23], off
	v_mul_hi_u32 v20, 0xaaaaaaab, v62
	s_load_dwordx4 s[8:11], s[2:3], 0x0
	s_load_dwordx2 s[2:3], s[4:5], 0x38
	v_cmp_gt_u16_e32 vcc_lo, 26, v27
	v_lshrrev_b32_e32 v20, 1, v20
	v_lshl_add_u32 v20, v20, 1, v20
	v_sub_nc_u32_e32 v20, v62, v20
	v_mul_u32_u24_e32 v106, 0x30c, v20
	v_lshlrev_b32_e32 v95, 3, v106
	v_add_nc_u32_e32 v94, v54, v95
	v_lshl_add_u32 v77, v93, 4, v95
	v_add_nc_u32_e32 v28, 0x1000, v94
	v_add_nc_u32_e32 v25, 0xc00, v94
	;; [unrolled: 1-line block ×4, first 2 shown]
	s_waitcnt vmcnt(11)
	v_mul_f32_e32 v23, v0, v72
	s_waitcnt vmcnt(10)
	v_mul_f32_e32 v20, v3, v76
	v_mul_f32_e32 v21, v2, v76
	;; [unrolled: 1-line block ×3, first 2 shown]
	v_fma_f32 v23, v1, v71, -v23
	v_fmac_f32_e32 v20, v2, v75
	s_waitcnt vmcnt(9)
	v_mul_f32_e32 v2, v7, v70
	v_mul_f32_e32 v1, v6, v70
	v_fma_f32 v21, v3, v75, -v21
	v_fmac_f32_e32 v22, v0, v71
	v_fmac_f32_e32 v2, v6, v69
	v_fma_f32 v3, v7, v69, -v1
	ds_write_b64 v94, v[20:21] offset:3120
	s_waitcnt vmcnt(8)
	v_mul_f32_e32 v0, v11, v74
	s_waitcnt vmcnt(7)
	v_mul_f32_e32 v6, v13, v57
	v_mul_f32_e32 v7, v12, v57
	;; [unrolled: 1-line block ×3, first 2 shown]
	v_fmac_f32_e32 v0, v10, v73
	s_waitcnt vmcnt(6)
	v_mul_f32_e32 v10, v15, v64
	v_fmac_f32_e32 v6, v12, v56
	v_fma_f32 v7, v13, v56, -v7
	v_fma_f32 v1, v11, v73, -v20
	v_mul_f32_e32 v11, v14, v64
	s_waitcnt vmcnt(5)
	v_mul_f32_e32 v12, v17, v61
	v_mul_f32_e32 v13, v16, v61
	v_fmac_f32_e32 v10, v14, v63
	v_fma_f32 v11, v15, v63, -v11
	s_waitcnt vmcnt(4)
	v_mul_f32_e32 v14, v19, v59
	v_fmac_f32_e32 v12, v16, v60
	v_fma_f32 v13, v17, v60, -v13
	s_waitcnt vmcnt(2)
	v_mul_f32_e32 v16, v5, v66
	v_mul_f32_e32 v17, v4, v66
	v_mul_f32_e32 v15, v18, v59
	v_fmac_f32_e32 v14, v18, v58
	s_waitcnt vmcnt(0)
	v_mul_f32_e32 v18, v9, v68
	v_mul_f32_e32 v20, v8, v68
	v_fmac_f32_e32 v16, v4, v65
	v_fma_f32 v17, v5, v65, -v17
	v_fma_f32 v15, v19, v58, -v15
	v_fmac_f32_e32 v18, v8, v67
	v_fma_f32 v19, v9, v67, -v20
	ds_write2_b64 v94, v[22:23], v[2:3] offset1:78
	ds_write2_b64 v25, v[0:1], v[10:11] offset0:84 offset1:162
	ds_write2_b64 v94, v[6:7], v[12:13] offset0:156 offset1:234
	ds_write_b64 v94, v[16:17] offset:2496
	ds_write2_b64 v28, v[14:15], v[18:19] offset0:112 offset1:190
	s_waitcnt lgkmcnt(0)
	s_barrier
	buffer_gl0_inv
	ds_read2_b64 v[0:3], v94 offset1:78
	ds_read2_b64 v[4:7], v25 offset0:84 offset1:162
	ds_read2_b64 v[8:11], v94 offset0:156 offset1:234
	v_and_b32_e32 v16, 0xffff, v24
	ds_read2_b64 v[12:15], v28 offset0:112 offset1:190
	ds_read2_b64 v[21:24], v29 offset0:56 offset1:134
	v_add_co_u32 v20, null, 0x4e, v93
	v_add_co_u32 v19, null, 0x9c, v93
	v_lshl_add_u32 v55, v16, 3, v95
	v_add_co_u32 v18, null, 0xea, v93
	v_lshl_add_u32 v99, v20, 4, v95
	v_lshl_add_u32 v100, v19, 4, v95
	s_waitcnt lgkmcnt(0)
	v_lshl_add_u32 v101, v18, 4, v95
	s_barrier
	buffer_gl0_inv
	v_sub_f32_e32 v4, v2, v4
	v_sub_f32_e32 v5, v3, v5
	;; [unrolled: 1-line block ×10, first 2 shown]
	v_fma_f32 v23, v0, 2.0, -v25
	v_fma_f32 v24, v1, 2.0, -v26
	;; [unrolled: 1-line block ×10, first 2 shown]
	ds_write_b128 v55, v[23:26]
	ds_write_b128 v99, v[2:5]
	;; [unrolled: 1-line block ×4, first 2 shown]
	ds_write_b128 v77, v[32:35] offset:4992
	s_waitcnt lgkmcnt(0)
	s_barrier
	buffer_gl0_inv
	ds_read2_b64 v[40:43], v94 offset1:78
	ds_read2_b64 v[36:39], v30 offset0:28 offset1:132
	ds_read2_b64 v[0:3], v28 offset0:8 offset1:86
	;; [unrolled: 1-line block ×3, first 2 shown]
	ds_read_b64 v[12:13], v94 offset:5408
                                        ; implicit-def: $vgpr14
                                        ; implicit-def: $vgpr16
	s_and_saveexec_b32 s0, vcc_lo
	s_cbranch_execz .LBB0_3
; %bb.2:
	ds_read_b64 v[34:35], v94 offset:1872
	ds_read_b64 v[14:15], v94 offset:3952
	;; [unrolled: 1-line block ×3, first 2 shown]
.LBB0_3:
	s_or_b32 exec_lo, exec_lo, s0
	v_and_b32_e32 v98, 1, v93
	v_lshrrev_b32_e32 v21, 1, v93
	v_lshrrev_b32_e32 v20, 1, v20
	;; [unrolled: 1-line block ×4, first 2 shown]
	v_lshlrev_b32_e32 v8, 4, v98
	v_mul_u32_u24_e32 v21, 6, v21
	v_mul_u32_u24_e32 v20, 6, v20
	;; [unrolled: 1-line block ×3, first 2 shown]
	global_load_dwordx4 v[8:11], v8, s[14:15]
	v_or_b32_e32 v18, v21, v98
	v_or_b32_e32 v20, v20, v98
	;; [unrolled: 1-line block ×3, first 2 shown]
	s_waitcnt vmcnt(0) lgkmcnt(0)
	s_barrier
	v_lshl_add_u32 v105, v18, 3, v95
	v_lshl_add_u32 v104, v20, 3, v95
	;; [unrolled: 1-line block ×3, first 2 shown]
	buffer_gl0_inv
	v_mul_f32_e32 v18, v39, v9
	v_mul_f32_e32 v19, v38, v9
	;; [unrolled: 1-line block ×16, first 2 shown]
	v_fma_f32 v18, v38, v8, -v18
	v_fmac_f32_e32 v19, v39, v8
	v_fma_f32 v0, v0, v10, -v20
	v_fmac_f32_e32 v21, v1, v10
	;; [unrolled: 2-line block ×8, first 2 shown]
	v_add_f32_e32 v7, v40, v18
	v_add_f32_e32 v12, v18, v0
	v_add_f32_e32 v15, v19, v21
	v_sub_f32_e32 v16, v18, v0
	v_add_f32_e32 v18, v1, v2
	v_add_f32_e32 v22, v23, v25
	v_add_f32_e32 v24, v3, v4
	v_sub_f32_e32 v26, v27, v30
	;; [unrolled: 4-line block ×3, first 2 shown]
	v_add_f32_e32 v50, v35, v31
	v_add_f32_e32 v31, v31, v33
	v_sub_f32_e32 v13, v19, v21
	v_add_f32_e32 v14, v41, v19
	v_add_f32_e32 v17, v42, v1
	v_sub_f32_e32 v19, v23, v25
	v_add_f32_e32 v20, v43, v23
	v_sub_f32_e32 v1, v1, v2
	;; [unrolled: 2-line block ×4, first 2 shown]
	v_fma_f32 v44, -0.5, v12, v40
	v_fma_f32 v45, -0.5, v15, v41
	;; [unrolled: 1-line block ×3, first 2 shown]
	v_fmac_f32_e32 v43, -0.5, v22
	v_fma_f32 v36, -0.5, v24, v36
	v_fmac_f32_e32 v37, -0.5, v27
	v_fmac_f32_e32 v34, -0.5, v39
	;; [unrolled: 1-line block ×3, first 2 shown]
	v_add_f32_e32 v28, v7, v0
	v_add_f32_e32 v29, v14, v21
	;; [unrolled: 1-line block ×8, first 2 shown]
	v_fmamk_f32 v30, v13, 0x3f5db3d7, v44
	v_fmac_f32_e32 v44, 0xbf5db3d7, v13
	v_fmamk_f32 v31, v16, 0xbf5db3d7, v45
	v_fmac_f32_e32 v45, 0x3f5db3d7, v16
	;; [unrolled: 2-line block ×8, first 2 shown]
	ds_write2_b64 v105, v[28:29], v[30:31] offset1:2
	ds_write_b64 v105, v[44:45] offset:32
	ds_write2_b64 v104, v[46:47], v[40:41] offset1:2
	ds_write_b64 v104, v[42:43] offset:32
	;; [unrolled: 2-line block ×3, first 2 shown]
	s_and_saveexec_b32 s0, vcc_lo
	s_cbranch_execz .LBB0_5
; %bb.4:
	v_mul_u32_u24_e32 v0, 6, v102
	v_or_b32_e32 v0, v0, v98
	v_lshl_add_u32 v0, v0, 3, v95
	ds_write2_b64 v0, v[38:39], v[32:33] offset1:2
	ds_write_b64 v0, v[34:35] offset:32
.LBB0_5:
	s_or_b32 exec_lo, exec_lo, s0
	v_cmp_gt_u16_e64 s0, 60, v93
	s_waitcnt lgkmcnt(0)
	s_barrier
	buffer_gl0_inv
                                        ; implicit-def: $vgpr52
	s_and_saveexec_b32 s1, s0
	s_cbranch_execz .LBB0_7
; %bb.6:
	v_add_nc_u32_e32 v0, 0x400, v94
	v_add_nc_u32_e32 v1, 0x800, v94
	;; [unrolled: 1-line block ×4, first 2 shown]
	ds_read2_b64 v[28:31], v94 offset1:60
	ds_read2_b64 v[44:47], v94 offset0:120 offset1:180
	ds_read2_b64 v[40:43], v0 offset0:112 offset1:172
	ds_read2_b64 v[48:51], v1 offset0:104 offset1:164
	ds_read2_b64 v[36:39], v2 offset0:96 offset1:156
	ds_read2_b64 v[32:35], v3 offset0:88 offset1:148
	ds_read_b64 v[52:53], v94 offset:5760
.LBB0_7:
	s_or_b32 exec_lo, exec_lo, s1
	v_and_b32_e32 v0, 0xff, v93
	v_mul_lo_u16 v0, 0xab, v0
	v_lshrrev_b16 v97, 10, v0
	v_mul_lo_u16 v0, v97, 6
	v_sub_nc_u16 v0, v93, v0
	v_and_b32_e32 v96, 0xff, v0
	v_mad_u64_u32 v[24:25], null, 0x60, v96, s[14:15]
	s_clause 0x5
	global_load_dwordx4 v[16:19], v[24:25], off offset:32
	global_load_dwordx4 v[12:15], v[24:25], off offset:48
	;; [unrolled: 1-line block ×6, first 2 shown]
	s_waitcnt vmcnt(0) lgkmcnt(0)
	s_barrier
	buffer_gl0_inv
	v_mul_f32_e32 v87, v31, v17
	v_mul_f32_e32 v109, v30, v17
	;; [unrolled: 1-line block ×9, first 2 shown]
	v_fma_f32 v114, v30, v16, -v87
	v_fmac_f32_e32 v109, v31, v16
	v_fma_f32 v31, v52, v26, -v120
	v_fmac_f32_e32 v78, v53, v26
	v_mul_f32_e32 v89, v47, v13
	v_mul_f32_e32 v107, v46, v13
	;; [unrolled: 1-line block ×7, first 2 shown]
	v_fma_f32 v113, v44, v18, -v88
	v_fmac_f32_e32 v108, v45, v18
	v_fmac_f32_e32 v82, v37, v6
	v_fma_f32 v37, v34, v24, -v119
	v_fmac_f32_e32 v79, v35, v24
	v_sub_f32_e32 v124, v114, v31
	v_sub_f32_e32 v121, v109, v78
	v_mul_f32_e32 v90, v41, v15
	v_mul_f32_e32 v91, v43, v1
	;; [unrolled: 1-line block ×3, first 2 shown]
	v_fma_f32 v112, v46, v12, -v89
	v_fmac_f32_e32 v107, v47, v12
	v_fmac_f32_e32 v86, v41, v14
	v_fma_f32 v41, v38, v20, -v117
	v_fma_f32 v38, v32, v22, -v118
	v_fmac_f32_e32 v80, v33, v22
	v_add_f32_e32 v30, v114, v31
	v_add_f32_e32 v33, v109, v78
	v_sub_f32_e32 v128, v113, v37
	v_sub_f32_e32 v123, v108, v79
	v_mul_f32_e32 v118, 0xbeedf032, v121
	v_mul_f32_e32 v126, 0xbeedf032, v124
	;; [unrolled: 1-line block ×7, first 2 shown]
	v_fma_f32 v111, v40, v14, -v90
	v_fma_f32 v110, v42, v0, -v91
	;; [unrolled: 1-line block ×3, first 2 shown]
	v_fmac_f32_e32 v81, v39, v20
	v_add_f32_e32 v32, v113, v37
	v_add_f32_e32 v34, v108, v79
	v_sub_f32_e32 v131, v112, v38
	v_sub_f32_e32 v125, v107, v80
	v_mul_f32_e32 v116, 0xbf52af12, v123
	v_mul_f32_e32 v122, 0xbf52af12, v128
	;; [unrolled: 1-line block ×6, first 2 shown]
	v_fmamk_f32 v36, v30, 0x3f62ad3f, v118
	v_fma_f32 v87, 0x3f62ad3f, v33, -v126
	v_fmamk_f32 v164, v30, 0x3f116cb1, v135
	v_fma_f32 v166, 0x3f116cb1, v33, -v145
	;; [unrolled: 2-line block ×3, first 2 shown]
	v_mul_f32_e32 v92, v49, v3
	v_mul_f32_e32 v84, v48, v3
	;; [unrolled: 1-line block ×4, first 2 shown]
	v_fmac_f32_e32 v85, v43, v0
	v_add_f32_e32 v35, v112, v38
	v_add_f32_e32 v39, v107, v80
	v_sub_f32_e32 v132, v111, v41
	v_sub_f32_e32 v129, v86, v81
	v_mul_f32_e32 v53, 0xbf7e222b, v125
	v_mul_f32_e32 v120, 0xbf7e222b, v131
	v_mul_f32_e32 v136, 0xbe750f2a, v125
	v_mul_f32_e32 v140, 0xbe750f2a, v131
	v_mul_f32_e32 v153, 0x3f6f5d39, v125
	v_mul_f32_e32 v155, 0x3f6f5d39, v131
	v_fmamk_f32 v88, v32, 0x3f116cb1, v116
	v_fma_f32 v89, 0x3f116cb1, v34, -v122
	v_fmamk_f32 v165, v32, 0xbeb58ec6, v134
	v_fma_f32 v167, 0xbeb58ec6, v34, -v144
	;; [unrolled: 2-line block ×3, first 2 shown]
	v_add_f32_e32 v36, v28, v36
	v_add_f32_e32 v87, v29, v87
	v_add_f32_e32 v164, v28, v164
	v_add_f32_e32 v166, v29, v166
	v_add_f32_e32 v176, v28, v176
	v_add_f32_e32 v178, v29, v178
	v_fma_f32 v47, v48, v2, -v92
	v_fmac_f32_e32 v84, v49, v2
	v_fma_f32 v45, v50, v4, -v115
	v_fmac_f32_e32 v83, v51, v4
	v_add_f32_e32 v40, v111, v41
	v_add_f32_e32 v43, v86, v81
	v_sub_f32_e32 v138, v110, v42
	v_sub_f32_e32 v130, v85, v82
	v_mul_f32_e32 v52, 0xbf6f5d39, v129
	v_mul_f32_e32 v119, 0xbf6f5d39, v132
	;; [unrolled: 1-line block ×6, first 2 shown]
	v_fmamk_f32 v90, v35, 0x3df6dbef, v53
	v_fma_f32 v91, 0x3df6dbef, v39, -v120
	v_fmamk_f32 v168, v35, 0xbf788fa5, v136
	v_fma_f32 v169, 0xbf788fa5, v39, -v140
	;; [unrolled: 2-line block ×3, first 2 shown]
	v_add_f32_e32 v36, v88, v36
	v_add_f32_e32 v87, v89, v87
	;; [unrolled: 1-line block ×8, first 2 shown]
	v_sub_f32_e32 v139, v84, v83
	v_sub_f32_e32 v146, v47, v45
	v_mul_f32_e32 v51, 0xbf29c268, v130
	v_mul_f32_e32 v117, 0xbf29c268, v138
	;; [unrolled: 1-line block ×6, first 2 shown]
	v_fmamk_f32 v92, v40, 0xbeb58ec6, v52
	v_fma_f32 v159, 0xbeb58ec6, v43, -v119
	v_fmamk_f32 v170, v40, 0xbf3f9e67, v137
	v_fma_f32 v171, 0xbf3f9e67, v43, -v141
	;; [unrolled: 2-line block ×3, first 2 shown]
	v_add_f32_e32 v36, v90, v36
	v_add_f32_e32 v87, v91, v87
	;; [unrolled: 1-line block ×8, first 2 shown]
	v_mul_f32_e32 v50, 0xbe750f2a, v139
	v_mul_f32_e32 v115, 0xbe750f2a, v146
	;; [unrolled: 1-line block ×6, first 2 shown]
	v_fmamk_f32 v160, v44, 0xbf3f9e67, v51
	v_fma_f32 v161, 0xbf3f9e67, v46, -v117
	v_fmamk_f32 v172, v44, 0x3df6dbef, v133
	v_fma_f32 v173, 0x3df6dbef, v46, -v142
	v_fmamk_f32 v184, v44, 0x3f116cb1, v148
	v_fma_f32 v185, 0x3f116cb1, v46, -v154
	v_add_f32_e32 v36, v92, v36
	v_add_f32_e32 v87, v159, v87
	;; [unrolled: 1-line block ×6, first 2 shown]
	v_fmamk_f32 v162, v48, 0xbf788fa5, v50
	v_fma_f32 v163, 0xbf788fa5, v49, -v115
	v_fmamk_f32 v174, v48, 0x3f62ad3f, v127
	v_fma_f32 v175, 0x3f62ad3f, v49, -v143
	;; [unrolled: 2-line block ×3, first 2 shown]
	v_add_f32_e32 v36, v160, v36
	v_add_f32_e32 v92, v161, v87
	;; [unrolled: 1-line block ×12, first 2 shown]
	v_add_nc_u32_e32 v36, 0x1380, v77
	s_and_saveexec_b32 s1, s0
	s_cbranch_execz .LBB0_9
; %bb.8:
	v_mul_f32_e32 v161, 0xbf3f9e67, v33
	v_mul_f32_e32 v163, 0xbf29c268, v121
	;; [unrolled: 1-line block ×5, first 2 shown]
	v_fmamk_f32 v159, v124, 0x3f29c268, v161
	v_fmac_f32_e32 v161, 0xbf29c268, v124
	v_fmamk_f32 v160, v30, 0xbf3f9e67, v163
	v_fmamk_f32 v162, v128, 0xbf7e222b, v164
	v_fmac_f32_e32 v164, 0x3f7e222b, v128
	v_add_f32_e32 v159, v29, v159
	v_add_f32_e32 v217, v29, v161
	v_fma_f32 v163, 0xbf3f9e67, v30, -v163
	v_fmamk_f32 v194, v32, 0x3df6dbef, v192
	v_mul_f32_e32 v195, 0xbf52af12, v125
	v_add_f32_e32 v159, v162, v159
	v_fmamk_f32 v162, v131, 0x3f52af12, v193
	v_mul_f32_e32 v196, 0xbf788fa5, v43
	v_add_f32_e32 v164, v164, v217
	v_fmac_f32_e32 v193, 0xbf52af12, v131
	v_add_f32_e32 v163, v28, v163
	v_fma_f32 v192, 0x3df6dbef, v32, -v192
	v_add_f32_e32 v160, v28, v160
	v_add_f32_e32 v159, v162, v159
	v_fmamk_f32 v162, v132, 0xbe750f2a, v196
	v_mul_f32_e32 v198, 0x3f62ad3f, v46
	v_add_f32_e32 v164, v193, v164
	v_fmac_f32_e32 v196, 0x3e750f2a, v132
	v_add_f32_e32 v163, v192, v163
	v_fma_f32 v192, 0x3f116cb1, v35, -v195
	v_add_f32_e32 v160, v194, v160
	v_fmamk_f32 v194, v35, 0x3f116cb1, v195
	v_mul_f32_e32 v197, 0x3e750f2a, v129
	v_add_f32_e32 v159, v162, v159
	v_fmamk_f32 v162, v138, 0xbeedf032, v198
	v_add_f32_e32 v164, v196, v164
	v_fmac_f32_e32 v198, 0x3eedf032, v138
	v_add_f32_e32 v163, v192, v163
	v_mul_f32_e32 v192, 0xbf6f5d39, v124
	v_add_f32_e32 v160, v194, v160
	v_fmamk_f32 v194, v40, 0xbf788fa5, v197
	v_mul_f32_e32 v199, 0x3eedf032, v130
	v_mul_f32_e32 v202, 0xbe750f2a, v124
	v_fma_f32 v124, 0xbf788fa5, v40, -v197
	v_add_f32_e32 v164, v198, v164
	v_fmamk_f32 v197, v33, 0xbeb58ec6, v192
	v_mul_f32_e32 v198, 0x3f29c268, v128
	v_mul_f32_e32 v200, 0xbeb58ec6, v49
	v_add_f32_e32 v160, v194, v160
	v_fmamk_f32 v194, v44, 0x3f62ad3f, v199
	v_mul_f32_e32 v201, 0xbf6f5d39, v139
	v_mul_f32_e32 v205, 0x3eedf032, v128
	;; [unrolled: 1-line block ×3, first 2 shown]
	v_add_f32_e32 v124, v124, v163
	v_fma_f32 v128, 0x3f62ad3f, v44, -v199
	v_add_f32_e32 v163, v29, v197
	v_fmamk_f32 v197, v34, 0xbf3f9e67, v198
	v_mul_f32_e32 v131, 0x3eedf032, v131
	v_add_f32_e32 v159, v162, v159
	v_fmamk_f32 v162, v146, 0x3f6f5d39, v200
	v_add_f32_e32 v194, v194, v160
	v_fmamk_f32 v203, v48, 0xbeb58ec6, v201
	v_mul_f32_e32 v204, 0xbe750f2a, v121
	v_mul_f32_e32 v210, 0x3f52af12, v132
	v_fmac_f32_e32 v200, 0xbf6f5d39, v146
	v_add_f32_e32 v124, v128, v124
	v_fma_f32 v128, 0xbeb58ec6, v48, -v201
	v_mul_f32_e32 v121, 0xbf6f5d39, v121
	v_add_f32_e32 v197, v197, v163
	v_fmamk_f32 v199, v39, 0x3f62ad3f, v131
	v_mul_f32_e32 v132, 0xbf7e222b, v132
	v_add_f32_e32 v160, v162, v159
	v_add_f32_e32 v159, v203, v194
	v_mul_f32_e32 v203, 0x3eedf032, v123
	v_mul_f32_e32 v212, 0xbf6f5d39, v138
	v_add_f32_e32 v164, v200, v164
	v_add_f32_e32 v163, v128, v124
	v_fma_f32 v124, 0xbeb58ec6, v30, -v121
	v_mul_f32_e32 v200, 0x3f29c268, v123
	v_add_f32_e32 v123, v199, v197
	v_fmamk_f32 v128, v43, 0x3df6dbef, v132
	v_mul_f32_e32 v138, 0x3e750f2a, v138
	v_mul_f32_e32 v209, 0xbf29c268, v125
	;; [unrolled: 1-line block ×3, first 2 shown]
	v_add_f32_e32 v124, v28, v124
	v_fma_f32 v197, 0xbf3f9e67, v32, -v200
	v_mul_f32_e32 v125, 0x3eedf032, v125
	v_add_f32_e32 v123, v128, v123
	v_fmamk_f32 v128, v46, 0xbf788fa5, v138
	v_mul_f32_e32 v146, 0x3f52af12, v146
	v_mul_f32_e32 v168, 0x3df6dbef, v30
	;; [unrolled: 1-line block ×4, first 2 shown]
	v_add_f32_e32 v124, v197, v124
	v_fma_f32 v197, 0x3f62ad3f, v35, -v125
	v_mul_f32_e32 v199, 0xbf7e222b, v129
	v_add_f32_e32 v123, v128, v123
	v_fmamk_f32 v129, v49, 0x3f116cb1, v146
	v_mul_f32_e32 v174, 0xbf788fa5, v32
	v_mul_f32_e32 v213, 0xbf6f5d39, v130
	v_add_f32_e32 v128, v158, v169
	v_add_f32_e32 v158, v197, v124
	v_fma_f32 v169, 0x3df6dbef, v40, -v199
	v_mul_f32_e32 v130, 0x3e750f2a, v130
	v_add_f32_e32 v124, v129, v123
	v_sub_f32_e32 v123, v168, v152
	v_mul_f32_e32 v180, 0xbeb58ec6, v35
	v_mul_f32_e32 v215, 0x3f7e222b, v139
	v_add_f32_e32 v129, v169, v158
	v_fma_f32 v152, 0xbf788fa5, v44, -v130
	v_add_f32_e32 v123, v28, v123
	v_sub_f32_e32 v151, v174, v151
	v_mul_f32_e32 v139, 0x3f52af12, v139
	v_mul_f32_e32 v166, 0x3f116cb1, v30
	v_add_f32_e32 v129, v152, v129
	v_mul_f32_e32 v172, 0xbeb58ec6, v32
	v_add_f32_e32 v123, v151, v123
	v_sub_f32_e32 v151, v180, v153
	v_fma_f32 v153, 0x3f116cb1, v48, -v139
	v_mul_f32_e32 v178, 0xbf788fa5, v35
	v_sub_f32_e32 v134, v172, v134
	v_mul_f32_e32 v184, 0xbf3f9e67, v40
	v_add_f32_e32 v151, v151, v123
	v_add_f32_e32 v123, v153, v129
	v_sub_f32_e32 v129, v166, v135
	v_sub_f32_e32 v136, v178, v136
	v_add_f32_e32 v114, v28, v114
	v_fmamk_f32 v162, v33, 0xbf788fa5, v202
	v_mul_f32_e32 v77, 0x3f62ad3f, v30
	v_add_f32_e32 v129, v28, v129
	v_fmamk_f32 v206, v34, 0x3f62ad3f, v205
	v_add_f32_e32 v113, v114, v113
	v_add_f32_e32 v162, v29, v162
	v_mul_f32_e32 v170, 0x3f116cb1, v32
	v_add_f32_e32 v134, v134, v129
	v_sub_f32_e32 v77, v77, v118
	v_fma_f32 v194, 0xbf788fa5, v30, -v204
	v_add_f32_e32 v162, v206, v162
	v_fmamk_f32 v206, v39, 0xbf3f9e67, v207
	v_add_f32_e32 v134, v136, v134
	v_sub_f32_e32 v136, v184, v137
	v_mul_f32_e32 v176, 0x3df6dbef, v35
	v_add_f32_e32 v77, v28, v77
	v_add_f32_e32 v162, v206, v162
	v_fmamk_f32 v206, v43, 0x3f116cb1, v210
	v_add_f32_e32 v134, v136, v134
	v_add_f32_e32 v136, v29, v109
	;; [unrolled: 1-line block ×3, first 2 shown]
	v_fma_f32 v208, 0x3f62ad3f, v32, -v203
	v_mul_f32_e32 v182, 0xbeb58ec6, v40
	v_add_f32_e32 v162, v206, v162
	v_add_f32_e32 v108, v136, v108
	v_fmamk_f32 v206, v46, 0xbeb58ec6, v212
	v_sub_f32_e32 v53, v176, v53
	v_add_f32_e32 v194, v208, v194
	v_fma_f32 v208, 0xbf3f9e67, v35, -v209
	v_add_f32_e32 v107, v108, v107
	v_mul_f32_e32 v188, 0xbf3f9e67, v44
	v_add_f32_e32 v162, v206, v162
	v_fmamk_f32 v206, v49, 0x3df6dbef, v214
	v_mul_f32_e32 v165, 0x3f62ad3f, v33
	v_add_f32_e32 v86, v107, v86
	v_add_f32_e32 v107, v113, v112
	v_sub_f32_e32 v113, v170, v116
	v_mul_f32_e32 v167, 0x3f116cb1, v33
	v_mul_f32_e32 v175, 0xbf788fa5, v34
	v_add_f32_e32 v85, v86, v85
	v_add_f32_e32 v86, v107, v111
	;; [unrolled: 1-line block ×4, first 2 shown]
	v_fma_f32 v208, 0x3f116cb1, v40, -v211
	v_add_f32_e32 v84, v85, v84
	v_add_f32_e32 v85, v86, v110
	;; [unrolled: 1-line block ×3, first 2 shown]
	v_sub_f32_e32 v77, v182, v52
	v_add_f32_e32 v162, v206, v162
	v_mul_f32_e32 v206, 0xbf788fa5, v48
	v_add_f32_e32 v47, v85, v47
	v_sub_f32_e32 v51, v188, v51
	v_add_f32_e32 v53, v77, v53
	v_mul_f32_e32 v171, 0x3f116cb1, v34
	v_add_f32_e32 v145, v145, v167
	v_add_f32_e32 v45, v47, v45
	v_fma_f32 v47, 0xbf788fa5, v33, -v202
	v_add_f32_e32 v126, v126, v165
	v_fma_f32 v33, 0xbeb58ec6, v33, -v192
	v_mul_f32_e32 v173, 0xbeb58ec6, v34
	v_add_f32_e32 v42, v45, v42
	v_add_f32_e32 v45, v29, v47
	v_fma_f32 v47, 0x3f62ad3f, v34, -v205
	v_mul_f32_e32 v181, 0xbeb58ec6, v39
	v_add_f32_e32 v194, v208, v194
	v_fma_f32 v208, 0xbeb58ec6, v44, -v213
	v_add_f32_e32 v128, v29, v128
	v_add_f32_e32 v157, v157, v175
	;; [unrolled: 1-line block ×3, first 2 shown]
	v_sub_f32_e32 v50, v206, v50
	v_add_f32_e32 v41, v42, v41
	v_add_f32_e32 v42, v47, v45
	v_fma_f32 v45, 0xbf3f9e67, v39, -v207
	v_fmac_f32_e32 v204, 0xbf788fa5, v30
	v_fmac_f32_e32 v121, 0xbeb58ec6, v30
	v_mul_f32_e32 v177, 0x3df6dbef, v39
	v_add_f32_e32 v145, v29, v145
	v_add_f32_e32 v126, v29, v126
	;; [unrolled: 1-line block ×5, first 2 shown]
	v_fma_f32 v33, 0xbf3f9e67, v34, -v198
	v_mul_f32_e32 v179, 0xbf788fa5, v39
	v_mul_f32_e32 v186, 0x3f62ad3f, v40
	v_mul_f32_e32 v187, 0x3f62ad3f, v43
	v_add_f32_e32 v194, v208, v194
	v_fma_f32 v208, 0x3df6dbef, v48, -v215
	v_add_f32_e32 v128, v157, v128
	v_add_f32_e32 v155, v155, v181
	;; [unrolled: 1-line block ×6, first 2 shown]
	v_fma_f32 v45, 0x3f116cb1, v43, -v210
	v_add_f32_e32 v50, v28, v204
	v_fmac_f32_e32 v203, 0x3f62ad3f, v32
	v_add_f32_e32 v28, v28, v121
	v_fmac_f32_e32 v200, 0xbf3f9e67, v32
	v_mul_f32_e32 v183, 0xbeb58ec6, v43
	v_add_f32_e32 v122, v122, v126
	v_add_f32_e32 v120, v120, v177
	v_add_f32_e32 v82, v83, v82
	v_add_f32_e32 v29, v33, v29
	v_fma_f32 v33, 0x3f62ad3f, v39, -v131
	v_mul_f32_e32 v185, 0xbf3f9e67, v43
	v_mul_f32_e32 v216, 0x3f116cb1, v44
	v_add_f32_e32 v161, v208, v194
	v_mul_f32_e32 v194, 0x3f116cb1, v46
	v_add_f32_e32 v128, v155, v128
	v_add_f32_e32 v152, v156, v187
	v_sub_f32_e32 v150, v186, v150
	v_add_f32_e32 v144, v144, v145
	v_add_f32_e32 v140, v140, v179
	v_add_f32_e32 v37, v41, v37
	v_add_f32_e32 v41, v45, v42
	v_add_f32_e32 v45, v203, v50
	v_fmac_f32_e32 v209, 0xbf3f9e67, v35
	v_add_f32_e32 v28, v200, v28
	v_fmac_f32_e32 v125, 0x3f62ad3f, v35
	v_mul_f32_e32 v189, 0xbf3f9e67, v46
	v_add_f32_e32 v114, v120, v122
	v_add_f32_e32 v112, v119, v183
	;; [unrolled: 1-line block ×4, first 2 shown]
	v_fma_f32 v33, 0x3df6dbef, v43, -v132
	v_mov_b32_e32 v34, 0x4e
	v_mul_f32_e32 v190, 0x3df6dbef, v44
	v_mul_f32_e32 v191, 0x3df6dbef, v46
	;; [unrolled: 1-line block ×4, first 2 shown]
	v_add_f32_e32 v128, v152, v128
	v_add_f32_e32 v152, v154, v194
	;; [unrolled: 1-line block ×3, first 2 shown]
	v_sub_f32_e32 v145, v216, v148
	v_add_f32_e32 v140, v140, v144
	v_add_f32_e32 v141, v141, v185
	;; [unrolled: 1-line block ×3, first 2 shown]
	v_fmac_f32_e32 v211, 0x3f116cb1, v40
	v_add_f32_e32 v28, v125, v28
	v_fmac_f32_e32 v199, 0x3df6dbef, v40
	v_mul_f32_e32 v208, 0xbf788fa5, v49
	v_add_f32_e32 v107, v112, v114
	v_add_f32_e32 v111, v117, v189
	;; [unrolled: 1-line block ×4, first 2 shown]
	v_mul_u32_u24_sdwa v33, v97, v34 dst_sel:DWORD dst_unused:UNUSED_PAD src0_sel:WORD_0 src1_sel:DWORD
	v_mul_f32_e32 v193, 0x3f62ad3f, v48
	v_mul_f32_e32 v195, 0x3f62ad3f, v49
	v_add_f32_e32 v128, v152, v128
	v_add_f32_e32 v148, v149, v217
	;; [unrolled: 1-line block ×3, first 2 shown]
	v_sub_f32_e32 v144, v196, v147
	v_add_f32_e32 v140, v141, v140
	v_add_f32_e32 v141, v142, v191
	v_sub_f32_e32 v133, v190, v133
	v_fma_f32 v42, 0xbeb58ec6, v46, -v212
	v_add_f32_e32 v30, v211, v30
	v_fmac_f32_e32 v213, 0xbeb58ec6, v44
	v_fma_f32 v34, 0xbf788fa5, v46, -v138
	v_add_f32_e32 v28, v199, v28
	v_fmac_f32_e32 v130, 0xbf788fa5, v44
	v_add_f32_e32 v86, v111, v107
	v_add_f32_e32 v107, v115, v208
	;; [unrolled: 1-line block ×3, first 2 shown]
	v_add_nc_u32_e32 v33, v33, v96
	v_add_f32_e32 v129, v148, v128
	v_add_f32_e32 v128, v144, v135
	;; [unrolled: 1-line block ×5, first 2 shown]
	v_sub_f32_e32 v127, v193, v127
	v_add_f32_e32 v37, v37, v31
	v_add_f32_e32 v31, v42, v41
	v_fma_f32 v32, 0x3df6dbef, v49, -v214
	v_add_f32_e32 v30, v213, v30
	v_fmac_f32_e32 v215, 0x3df6dbef, v48
	v_add_f32_e32 v34, v34, v29
	v_fma_f32 v35, 0x3f116cb1, v49, -v146
	v_add_f32_e32 v39, v130, v28
	v_fmac_f32_e32 v139, 0x3f116cb1, v48
	v_add_f32_e32 v52, v107, v86
	v_add_f32_e32 v38, v47, v78
	v_lshl_add_u32 v33, v33, 3, v95
	v_add_f32_e32 v109, v137, v135
	v_add_f32_e32 v108, v127, v133
	;; [unrolled: 1-line block ×6, first 2 shown]
	ds_write2_b64 v33, v[37:38], v[51:52] offset1:6
	ds_write2_b64 v33, v[108:109], v[128:129] offset0:12 offset1:18
	ds_write2_b64 v33, v[123:124], v[163:164] offset0:24 offset1:30
	ds_write2_b64 v33, v[161:162], v[28:29] offset0:36 offset1:42
	ds_write2_b64 v33, v[159:160], v[30:31] offset0:48 offset1:54
	ds_write2_b64 v33, v[91:92], v[89:90] offset0:60 offset1:66
	ds_write_b64 v33, v[87:88] offset:576
.LBB0_9:
	s_or_b32 exec_lo, exec_lo, s1
	v_lshlrev_b32_e32 v46, 5, v93
	s_waitcnt lgkmcnt(0)
	s_barrier
	buffer_gl0_inv
	v_add_nc_u32_e32 v48, 0x800, v94
	s_clause 0x1
	global_load_dwordx4 v[32:35], v46, s[14:15] offset:608
	global_load_dwordx4 v[28:31], v46, s[14:15] offset:624
	v_add_nc_u32_e32 v37, 0xc00, v94
	v_add_nc_u32_e32 v49, 0x1000, v94
	ds_read2_b64 v[38:41], v94 offset1:78
	ds_read2_b64 v[42:45], v94 offset0:156 offset1:234
	ds_read2_b64 v[50:53], v48 offset0:56 offset1:134
	;; [unrolled: 1-line block ×4, first 2 shown]
	v_mul_i32_i24_e32 v85, 0xffffffe8, v93
	v_add_co_u32 v46, s1, s14, v46
	v_mul_hi_i32_i24_e32 v47, 0xffffffe8, v93
	v_add_co_ci_u32_e64 v86, null, s15, 0, s1
	v_add_co_u32 v85, s1, v46, v85
	s_waitcnt vmcnt(0) lgkmcnt(0)
	v_add_co_ci_u32_e64 v86, s1, v86, v47, s1
	v_add_co_u32 v46, s1, 0x800, v85
	s_barrier
	v_add_co_ci_u32_e64 v47, s1, 0, v86, s1
	v_add_co_u32 v107, s1, 0x1000, v85
	v_add_co_ci_u32_e64 v108, s1, 0, v86, s1
	buffer_gl0_inv
	v_lshl_add_u32 v106, v106, 3, v54
	v_mul_f32_e32 v85, v43, v33
	v_mul_f32_e32 v86, v42, v33
	;; [unrolled: 1-line block ×16, first 2 shown]
	v_fma_f32 v42, v42, v32, -v85
	v_fmac_f32_e32 v86, v43, v32
	v_fma_f32 v43, v50, v34, -v109
	v_fmac_f32_e32 v110, v51, v34
	;; [unrolled: 2-line block ×8, first 2 shown]
	v_add_f32_e32 v51, v38, v42
	v_add_f32_e32 v52, v43, v50
	;; [unrolled: 1-line block ×3, first 2 shown]
	v_sub_f32_e32 v53, v42, v43
	v_sub_f32_e32 v78, v81, v50
	v_add_f32_e32 v79, v42, v81
	v_add_f32_e32 v109, v39, v86
	;; [unrolled: 1-line block ×3, first 2 shown]
	v_sub_f32_e32 v80, v43, v42
	v_sub_f32_e32 v85, v50, v81
	v_add_f32_e32 v124, v40, v44
	v_add_f32_e32 v125, v45, v77
	;; [unrolled: 1-line block ×6, first 2 shown]
	v_sub_f32_e32 v82, v86, v114
	v_sub_f32_e32 v113, v42, v81
	;; [unrolled: 1-line block ×3, first 2 shown]
	v_add_f32_e32 v51, v51, v43
	v_fma_f32 v42, -0.5, v52, v38
	v_fma_f32 v43, -0.5, v111, v39
	v_sub_f32_e32 v84, v110, v112
	v_add_f32_e32 v141, v53, v78
	v_fma_f32 v38, -0.5, v79, v38
	v_add_f32_e32 v53, v109, v110
	v_fma_f32 v39, -0.5, v121, v39
	v_sub_f32_e32 v117, v86, v110
	v_sub_f32_e32 v119, v114, v112
	;; [unrolled: 1-line block ×8, first 2 shown]
	v_add_f32_e32 v85, v80, v85
	v_add_f32_e32 v78, v124, v45
	v_fma_f32 v44, -0.5, v125, v40
	v_fma_f32 v40, -0.5, v130, v40
	v_add_f32_e32 v80, v133, v118
	v_fma_f32 v45, -0.5, v134, v41
	v_fmac_f32_e32 v41, -0.5, v139
	v_sub_f32_e32 v137, v116, v118
	v_sub_f32_e32 v116, v118, v116
	v_add_f32_e32 v118, v51, v50
	v_fmamk_f32 v50, v82, 0x3f737871, v42
	v_fmamk_f32 v51, v113, 0xbf737871, v43
	v_sub_f32_e32 v86, v110, v86
	v_sub_f32_e32 v123, v112, v114
	v_fmamk_f32 v52, v84, 0xbf737871, v38
	v_fmac_f32_e32 v38, 0x3f737871, v84
	v_add_f32_e32 v112, v53, v112
	v_fmamk_f32 v53, v115, 0x3f737871, v39
	v_fmac_f32_e32 v39, 0xbf737871, v115
	v_fmac_f32_e32 v42, 0xbf737871, v82
	;; [unrolled: 1-line block ×3, first 2 shown]
	v_sub_f32_e32 v129, v83, v77
	v_sub_f32_e32 v132, v77, v83
	;; [unrolled: 1-line block ×4, first 2 shown]
	v_add_f32_e32 v109, v117, v119
	v_add_f32_e32 v119, v78, v77
	v_fmamk_f32 v77, v126, 0x3f737871, v44
	v_fmamk_f32 v79, v127, 0xbf737871, v40
	v_add_f32_e32 v120, v80, v120
	v_fmamk_f32 v78, v135, 0xbf737871, v45
	v_fmamk_f32 v80, v136, 0x3f737871, v41
	v_fmac_f32_e32 v44, 0xbf737871, v126
	v_fmac_f32_e32 v40, 0x3f737871, v127
	v_fmac_f32_e32 v45, 0x3f737871, v135
	v_fmac_f32_e32 v41, 0xbf737871, v136
	v_fmac_f32_e32 v50, 0x3f167918, v84
	v_fmac_f32_e32 v51, 0xbf167918, v115
	v_add_f32_e32 v86, v86, v123
	v_fmac_f32_e32 v52, 0x3f167918, v82
	v_fmac_f32_e32 v38, 0xbf167918, v82
	;; [unrolled: 1-line block ×6, first 2 shown]
	v_add_f32_e32 v110, v128, v129
	v_add_f32_e32 v111, v131, v132
	;; [unrolled: 1-line block ×4, first 2 shown]
	v_fmac_f32_e32 v77, 0x3f167918, v127
	v_fmac_f32_e32 v79, 0x3f167918, v126
	;; [unrolled: 1-line block ×8, first 2 shown]
	v_add_f32_e32 v81, v118, v81
	v_add_f32_e32 v82, v112, v114
	v_fmac_f32_e32 v50, 0x3e9e377a, v141
	v_fmac_f32_e32 v51, 0x3e9e377a, v109
	;; [unrolled: 1-line block ×6, first 2 shown]
	v_add_f32_e32 v83, v119, v83
	v_add_f32_e32 v84, v120, v122
	v_fmac_f32_e32 v42, 0x3e9e377a, v141
	v_fmac_f32_e32 v43, 0x3e9e377a, v109
	;; [unrolled: 1-line block ×10, first 2 shown]
	ds_write2_b64 v94, v[81:82], v[50:51] offset1:78
	ds_write2_b64 v94, v[52:53], v[38:39] offset0:156 offset1:234
	ds_write2_b64 v48, v[42:43], v[83:84] offset0:56 offset1:134
	;; [unrolled: 1-line block ×4, first 2 shown]
	s_waitcnt lgkmcnt(0)
	s_barrier
	buffer_gl0_inv
	s_clause 0x4
	global_load_dwordx2 v[85:86], v[46:47], off offset:1056
	global_load_dwordx2 v[83:84], v[46:47], off offset:1680
	;; [unrolled: 1-line block ×5, first 2 shown]
	ds_read2_b64 v[38:41], v48 offset0:56 offset1:134
	ds_read2_b64 v[42:45], v37 offset0:84 offset1:162
	;; [unrolled: 1-line block ×3, first 2 shown]
	ds_read2_b64 v[107:110], v94 offset1:78
	ds_read2_b64 v[111:114], v94 offset0:156 offset1:234
	v_lshlrev_b32_e32 v46, 3, v93
	v_add_nc_u32_e32 v119, 0x1000, v106
	v_add_co_u32 v54, s1, s12, v46
	v_add_co_ci_u32_e64 v123, null, s13, 0, s1
	v_add_co_u32 v46, s1, 0x1860, v54
	v_add_co_ci_u32_e64 v47, s1, 0, v123, s1
	v_add_co_u32 v115, s1, 0x1800, v54
	v_add_co_ci_u32_e64 v116, s1, 0, v123, s1
	;; [unrolled: 2-line block ×3, first 2 shown]
	s_waitcnt vmcnt(4) lgkmcnt(4)
	v_mul_f32_e32 v120, v41, v86
	v_mul_f32_e32 v121, v40, v86
	s_waitcnt vmcnt(3) lgkmcnt(3)
	v_mul_f32_e32 v122, v43, v84
	v_mul_f32_e32 v124, v42, v84
	s_waitcnt vmcnt(2)
	v_mul_f32_e32 v125, v45, v78
	v_mul_f32_e32 v126, v44, v78
	s_waitcnt vmcnt(1) lgkmcnt(2)
	v_mul_f32_e32 v127, v51, v80
	v_mul_f32_e32 v128, v50, v80
	s_waitcnt vmcnt(0)
	v_mul_f32_e32 v129, v53, v82
	v_mul_f32_e32 v130, v52, v82
	v_fma_f32 v40, v40, v85, -v120
	v_fmac_f32_e32 v121, v41, v85
	v_fma_f32 v42, v42, v83, -v122
	v_fmac_f32_e32 v124, v43, v83
	v_fma_f32 v44, v44, v77, -v125
	v_fmac_f32_e32 v126, v45, v77
	v_fma_f32 v50, v50, v79, -v127
	v_fmac_f32_e32 v128, v51, v79
	v_fma_f32 v52, v52, v81, -v129
	v_fmac_f32_e32 v130, v53, v81
	s_waitcnt lgkmcnt(1)
	v_sub_f32_e32 v40, v107, v40
	v_sub_f32_e32 v41, v108, v121
	;; [unrolled: 1-line block ×4, first 2 shown]
	s_waitcnt lgkmcnt(0)
	v_sub_f32_e32 v44, v111, v44
	v_sub_f32_e32 v45, v112, v126
	;; [unrolled: 1-line block ×6, first 2 shown]
	v_fma_f32 v107, v107, 2.0, -v40
	v_fma_f32 v108, v108, 2.0, -v41
	v_fma_f32 v109, v109, 2.0, -v42
	v_fma_f32 v110, v110, 2.0, -v43
	v_fma_f32 v111, v111, 2.0, -v44
	v_fma_f32 v112, v112, 2.0, -v45
	v_fma_f32 v113, v113, 2.0, -v50
	v_fma_f32 v114, v114, 2.0, -v51
	v_fma_f32 v38, v38, 2.0, -v52
	v_fma_f32 v39, v39, 2.0, -v53
	ds_write_b64 v94, v[40:41] offset:3120
	ds_write2_b64 v94, v[107:108], v[109:110] offset1:78
	ds_write_b64 v94, v[42:43] offset:3744
	ds_write2_b64 v94, v[111:112], v[113:114] offset0:156 offset1:234
	ds_write2_b64 v119, v[44:45], v[50:51] offset0:34 offset1:112
	ds_write_b64 v94, v[38:39] offset:2496
	ds_write_b64 v106, v[52:53] offset:5616
	v_add_co_u32 v38, s1, 0x2800, v54
	s_waitcnt lgkmcnt(0)
	s_barrier
	buffer_gl0_inv
	s_clause 0x2
	global_load_dwordx2 v[115:116], v[115:116], off offset:96
	global_load_dwordx2 v[119:120], v[117:118], off offset:1168
	;; [unrolled: 1-line block ×3, first 2 shown]
	v_add_co_ci_u32_e64 v39, s1, 0, v123, s1
	s_clause 0x6
	global_load_dwordx2 v[123:124], v[117:118], off offset:1792
	global_load_dwordx2 v[125:126], v[46:47], off offset:1248
	;; [unrolled: 1-line block ×7, first 2 shown]
	ds_read2_b64 v[38:41], v94 offset1:78
	ds_read2_b64 v[42:45], v48 offset0:56 offset1:134
	ds_read2_b64 v[50:53], v37 offset0:84 offset1:162
	ds_read2_b64 v[107:110], v94 offset0:156 offset1:234
	ds_read2_b64 v[111:114], v49 offset0:112 offset1:190
	s_waitcnt vmcnt(9) lgkmcnt(4)
	v_mul_f32_e32 v134, v39, v116
	v_mul_f32_e32 v133, v38, v116
	s_waitcnt vmcnt(8) lgkmcnt(3)
	v_mul_f32_e32 v135, v45, v120
	v_mul_f32_e32 v116, v44, v120
	s_waitcnt vmcnt(7)
	v_mul_f32_e32 v136, v41, v122
	v_mul_f32_e32 v120, v40, v122
	s_waitcnt vmcnt(6) lgkmcnt(2)
	v_mul_f32_e32 v137, v51, v124
	v_mul_f32_e32 v122, v50, v124
	s_waitcnt vmcnt(5) lgkmcnt(1)
	v_mul_f32_e32 v138, v108, v126
	v_mul_f32_e32 v124, v107, v126
	s_waitcnt vmcnt(4)
	v_mul_f32_e32 v139, v53, v128
	v_mul_f32_e32 v126, v52, v128
	s_waitcnt vmcnt(3)
	v_mul_f32_e32 v140, v110, v47
	v_mul_f32_e32 v54, v109, v47
	s_waitcnt vmcnt(2) lgkmcnt(0)
	v_mul_f32_e32 v141, v112, v130
	v_mul_f32_e32 v47, v111, v130
	s_waitcnt vmcnt(1)
	v_mul_f32_e32 v130, v43, v118
	v_mul_f32_e32 v128, v42, v118
	s_waitcnt vmcnt(0)
	v_mul_f32_e32 v142, v114, v132
	v_mul_f32_e32 v118, v113, v132
	v_fma_f32 v132, v38, v115, -v134
	v_fmac_f32_e32 v133, v39, v115
	v_fma_f32 v115, v44, v119, -v135
	v_fmac_f32_e32 v116, v45, v119
	;; [unrolled: 2-line block ×10, first 2 shown]
	ds_write2_b64 v94, v[132:133], v[119:120] offset1:78
	ds_write2_b64 v37, v[121:122], v[125:126] offset0:84 offset1:162
	ds_write2_b64 v94, v[123:124], v[53:54] offset0:156 offset1:234
	;; [unrolled: 1-line block ×4, first 2 shown]
	s_waitcnt lgkmcnt(0)
	s_barrier
	buffer_gl0_inv
	ds_read2_b64 v[38:41], v94 offset1:78
	ds_read2_b64 v[42:45], v48 offset0:56 offset1:134
	ds_read2_b64 v[50:53], v37 offset0:84 offset1:162
	;; [unrolled: 1-line block ×4, first 2 shown]
	v_add_nc_u32_e32 v54, 0x400, v94
	s_waitcnt lgkmcnt(0)
	s_barrier
	buffer_gl0_inv
	v_sub_f32_e32 v115, v38, v44
	v_sub_f32_e32 v116, v39, v45
	v_sub_f32_e32 v119, v40, v50
	v_sub_f32_e32 v120, v41, v51
	v_sub_f32_e32 v52, v107, v52
	v_sub_f32_e32 v53, v108, v53
	v_sub_f32_e32 v111, v109, v111
	v_sub_f32_e32 v112, v110, v112
	v_sub_f32_e32 v46, v42, v113
	v_sub_f32_e32 v47, v43, v114
	v_fma_f32 v113, v38, 2.0, -v115
	v_fma_f32 v114, v39, 2.0, -v116
	;; [unrolled: 1-line block ×10, first 2 shown]
	ds_write_b128 v55, v[113:116]
	ds_write_b128 v99, v[117:120]
	ds_write_b128 v100, v[50:53]
	ds_write_b128 v101, v[109:112]
	ds_write_b128 v36, v[44:47]
	s_waitcnt lgkmcnt(0)
	s_barrier
	buffer_gl0_inv
	ds_read2_b64 v[36:39], v94 offset1:78
	ds_read2_b64 v[40:43], v54 offset0:28 offset1:132
	ds_read2_b64 v[52:55], v49 offset0:8 offset1:86
	;; [unrolled: 1-line block ×3, first 2 shown]
	ds_read_b64 v[44:45], v94 offset:5408
	s_and_saveexec_b32 s1, vcc_lo
	s_cbranch_execz .LBB0_11
; %bb.10:
	ds_read_b64 v[46:47], v94 offset:1872
	ds_read_b64 v[91:92], v94 offset:3952
	;; [unrolled: 1-line block ×3, first 2 shown]
.LBB0_11:
	s_or_b32 exec_lo, exec_lo, s1
	s_waitcnt lgkmcnt(2)
	v_mul_f32_e32 v101, v11, v53
	v_mul_f32_e32 v99, v9, v43
	;; [unrolled: 1-line block ×4, first 2 shown]
	s_waitcnt lgkmcnt(1)
	v_mul_f32_e32 v108, v9, v51
	v_fmac_f32_e32 v101, v10, v52
	v_mul_f32_e32 v52, v9, v48
	v_fmac_f32_e32 v99, v8, v42
	v_fma_f32 v42, v8, v43, -v100
	v_mul_f32_e32 v43, v9, v49
	s_waitcnt lgkmcnt(0)
	v_mul_f32_e32 v109, v11, v45
	v_fma_f32 v49, v8, v49, -v52
	v_mul_f32_e32 v52, v9, v50
	v_fmac_f32_e32 v108, v8, v50
	v_mul_f32_e32 v50, v11, v44
	v_fma_f32 v100, v10, v53, -v107
	v_mul_f32_e32 v107, v11, v55
	v_fmac_f32_e32 v43, v8, v48
	v_mul_f32_e32 v48, v11, v54
	v_mul_f32_e32 v110, v9, v92
	v_fmac_f32_e32 v109, v10, v44
	v_mul_f32_e32 v9, v9, v91
	v_fma_f32 v44, v10, v45, -v50
	v_mul_f32_e32 v45, v11, v90
	v_mul_f32_e32 v11, v11, v89
	v_fmac_f32_e32 v107, v10, v54
	v_fma_f32 v48, v10, v55, -v48
	v_fma_f32 v51, v8, v51, -v52
	v_fmac_f32_e32 v110, v8, v91
	v_fma_f32 v91, v8, v92, -v9
	v_add_f32_e32 v8, v99, v101
	v_fmac_f32_e32 v45, v10, v89
	v_fma_f32 v89, v10, v90, -v11
	v_add_f32_e32 v10, v42, v100
	v_add_f32_e32 v9, v36, v99
	v_fma_f32 v52, -0.5, v8, v36
	v_sub_f32_e32 v11, v42, v100
	v_sub_f32_e32 v36, v99, v101
	v_fma_f32 v53, -0.5, v10, v37
	v_add_f32_e32 v8, v9, v101
	v_add_f32_e32 v9, v37, v42
	v_fmamk_f32 v10, v11, 0xbf5db3d7, v52
	v_fmac_f32_e32 v52, 0x3f5db3d7, v11
	v_add_f32_e32 v37, v43, v107
	v_fmamk_f32 v11, v36, 0x3f5db3d7, v53
	v_add_f32_e32 v42, v38, v43
	v_fmac_f32_e32 v53, 0xbf5db3d7, v36
	v_add_f32_e32 v36, v49, v48
	v_fma_f32 v38, -0.5, v37, v38
	v_sub_f32_e32 v37, v49, v48
	v_add_f32_e32 v54, v42, v107
	v_add_f32_e32 v42, v39, v49
	v_fmac_f32_e32 v39, -0.5, v36
	v_sub_f32_e32 v43, v43, v107
	v_fmamk_f32 v36, v37, 0xbf5db3d7, v38
	v_fmac_f32_e32 v38, 0x3f5db3d7, v37
	v_add_f32_e32 v55, v42, v48
	v_add_f32_e32 v42, v108, v109
	v_fmamk_f32 v37, v43, 0x3f5db3d7, v39
	v_fmac_f32_e32 v39, 0xbf5db3d7, v43
	v_add_f32_e32 v43, v51, v44
	v_add_f32_e32 v48, v40, v108
	v_fma_f32 v40, -0.5, v42, v40
	v_sub_f32_e32 v42, v51, v44
	v_add_f32_e32 v49, v41, v51
	v_fmac_f32_e32 v41, -0.5, v43
	v_sub_f32_e32 v43, v108, v109
	v_sub_f32_e32 v90, v91, v89
	v_fmamk_f32 v50, v42, 0xbf5db3d7, v40
	v_fmac_f32_e32 v40, 0x3f5db3d7, v42
	v_add_f32_e32 v42, v110, v45
	v_fmamk_f32 v51, v43, 0x3f5db3d7, v41
	v_fmac_f32_e32 v41, 0xbf5db3d7, v43
	v_add_f32_e32 v43, v91, v89
	v_add_f32_e32 v49, v49, v44
	;; [unrolled: 1-line block ×3, first 2 shown]
	v_fmac_f32_e32 v46, -0.5, v42
	v_add_f32_e32 v91, v47, v91
	v_fmac_f32_e32 v47, -0.5, v43
	v_sub_f32_e32 v92, v110, v45
	v_add_f32_e32 v9, v9, v100
	v_add_f32_e32 v48, v48, v109
	;; [unrolled: 1-line block ×3, first 2 shown]
	v_fmamk_f32 v44, v90, 0xbf5db3d7, v46
	v_fmac_f32_e32 v46, 0x3f5db3d7, v90
	v_add_f32_e32 v43, v91, v89
	v_fmamk_f32 v45, v92, 0x3f5db3d7, v47
	v_fmac_f32_e32 v47, 0xbf5db3d7, v92
	s_barrier
	buffer_gl0_inv
	ds_write2_b64 v105, v[8:9], v[10:11] offset1:2
	ds_write_b64 v105, v[52:53] offset:32
	ds_write2_b64 v104, v[54:55], v[36:37] offset1:2
	ds_write_b64 v104, v[38:39] offset:32
	;; [unrolled: 2-line block ×3, first 2 shown]
	s_and_saveexec_b32 s1, vcc_lo
	s_cbranch_execz .LBB0_13
; %bb.12:
	v_mul_u32_u24_e32 v89, 6, v102
	v_or_b32_e32 v89, v89, v98
	v_lshl_add_u32 v89, v89, 3, v95
	ds_write2_b64 v89, v[42:43], v[44:45] offset1:2
	ds_write_b64 v89, v[46:47] offset:32
.LBB0_13:
	s_or_b32 exec_lo, exec_lo, s1
	s_waitcnt lgkmcnt(0)
	s_barrier
	buffer_gl0_inv
	s_and_saveexec_b32 s1, s0
	s_cbranch_execz .LBB0_15
; %bb.14:
	v_add_nc_u32_e32 v36, 0x400, v94
	v_add_nc_u32_e32 v40, 0x800, v94
	;; [unrolled: 1-line block ×4, first 2 shown]
	ds_read2_b64 v[8:11], v94 offset1:60
	ds_read2_b64 v[52:55], v94 offset0:120 offset1:180
	ds_read2_b64 v[36:39], v36 offset0:112 offset1:172
	;; [unrolled: 1-line block ×5, first 2 shown]
	ds_read_b64 v[87:88], v94 offset:5760
.LBB0_15:
	s_or_b32 exec_lo, exec_lo, s1
	v_add_nc_u32_e32 v91, 0x4e0, v106
	v_add_nc_u32_e32 v90, 0x750, v106
	;; [unrolled: 1-line block ×3, first 2 shown]
	s_waitcnt lgkmcnt(0)
	s_barrier
	buffer_gl0_inv
	s_and_saveexec_b32 s1, s0
	s_cbranch_execz .LBB0_17
; %bb.16:
	v_mul_f32_e32 v98, v17, v11
	v_mul_f32_e32 v92, v27, v88
	;; [unrolled: 1-line block ×5, first 2 shown]
	v_fmac_f32_e32 v98, v16, v10
	v_fmac_f32_e32 v92, v26, v87
	v_mul_f32_e32 v87, v19, v53
	v_fma_f32 v26, v26, v88, -v99
	v_fma_f32 v88, v16, v11, -v17
	v_mul_f32_e32 v16, v25, v46
	v_sub_f32_e32 v11, v98, v92
	v_fmac_f32_e32 v87, v18, v52
	v_fmac_f32_e32 v27, v24, v46
	v_mul_f32_e32 v17, v19, v52
	v_add_f32_e32 v46, v26, v88
	v_mul_f32_e32 v99, 0xbf29c268, v11
	v_mul_f32_e32 v52, v13, v55
	;; [unrolled: 1-line block ×3, first 2 shown]
	v_sub_f32_e32 v10, v87, v27
	v_fma_f32 v24, v24, v47, -v16
	v_fma_f32 v47, v18, v53, -v17
	v_mul_f32_e32 v16, v23, v44
	v_mul_f32_e32 v17, v13, v54
	v_fmamk_f32 v19, v46, 0xbf3f9e67, v99
	v_fmac_f32_e32 v52, v12, v54
	v_fmac_f32_e32 v25, v22, v44
	v_mul_f32_e32 v23, 0x3f7e222b, v10
	v_add_f32_e32 v44, v24, v47
	v_fma_f32 v22, v22, v45, -v16
	v_fma_f32 v45, v12, v55, -v17
	v_mul_f32_e32 v55, v15, v37
	v_mul_f32_e32 v100, v21, v43
	v_sub_f32_e32 v13, v52, v25
	v_add_f32_e32 v12, v9, v19
	v_fmamk_f32 v16, v44, 0x3df6dbef, v23
	v_fmac_f32_e32 v55, v14, v36
	v_fmac_f32_e32 v100, v20, v42
	v_mul_f32_e32 v18, v21, v42
	v_mul_f32_e32 v15, v15, v36
	v_mul_f32_e32 v42, v1, v39
	v_mul_f32_e32 v101, v7, v41
	v_mul_f32_e32 v53, 0xbf52af12, v13
	v_add_f32_e32 v54, v22, v45
	v_add_f32_e32 v16, v16, v12
	v_sub_f32_e32 v12, v55, v100
	v_fma_f32 v43, v20, v43, -v18
	v_fma_f32 v102, v14, v37, -v15
	v_fmac_f32_e32 v42, v0, v38
	v_fmac_f32_e32 v101, v6, v40
	v_mul_f32_e32 v14, v7, v40
	v_mul_f32_e32 v1, v1, v38
	v_fmamk_f32 v17, v54, 0x3f116cb1, v53
	v_mul_f32_e32 v20, 0x3e750f2a, v12
	v_add_f32_e32 v38, v43, v102
	v_sub_f32_e32 v7, v42, v101
	v_fma_f32 v40, v6, v41, -v14
	v_fma_f32 v41, v0, v39, -v1
	v_add_f32_e32 v0, v17, v16
	v_fmamk_f32 v1, v38, 0xbf788fa5, v20
	v_mul_f32_e32 v21, 0x3eedf032, v7
	v_sub_f32_e32 v106, v88, v26
	v_add_f32_e32 v103, v40, v41
	v_mul_f32_e32 v104, v3, v49
	v_mul_f32_e32 v105, v5, v51
	v_add_f32_e32 v0, v1, v0
	v_add_f32_e32 v14, v92, v98
	v_fmamk_f32 v1, v103, 0x3f62ad3f, v21
	v_mul_f32_e32 v36, 0xbf29c268, v106
	v_sub_f32_e32 v107, v47, v24
	v_fmac_f32_e32 v104, v2, v48
	v_fmac_f32_e32 v105, v4, v50
	v_add_f32_e32 v0, v1, v0
	v_mul_f32_e32 v1, v5, v50
	v_mul_f32_e32 v3, v3, v48
	v_fma_f32 v5, 0xbf3f9e67, v14, -v36
	v_add_f32_e32 v15, v27, v87
	v_mul_f32_e32 v37, 0x3f7e222b, v107
	v_sub_f32_e32 v50, v45, v22
	v_sub_f32_e32 v6, v104, v105
	v_fma_f32 v48, v4, v51, -v1
	v_fma_f32 v49, v2, v49, -v3
	v_add_f32_e32 v1, v8, v5
	v_fma_f32 v2, 0x3df6dbef, v15, -v37
	v_add_f32_e32 v17, v25, v52
	v_mul_f32_e32 v4, 0xbf52af12, v50
	v_sub_f32_e32 v51, v102, v43
	v_mul_f32_e32 v5, 0xbf6f5d39, v6
	v_add_f32_e32 v108, v48, v49
	v_add_f32_e32 v1, v2, v1
	v_fma_f32 v2, 0x3f116cb1, v17, -v4
	v_add_f32_e32 v16, v100, v55
	v_mul_f32_e32 v39, 0x3e750f2a, v51
	v_fmamk_f32 v3, v108, 0xbeb58ec6, v5
	v_sub_f32_e32 v109, v41, v40
	v_add_f32_e32 v2, v2, v1
	v_mul_f32_e32 v110, 0xbf788fa5, v46
	v_fma_f32 v19, 0xbf788fa5, v16, -v39
	v_add_f32_e32 v1, v3, v0
	v_add_f32_e32 v18, v101, v42
	v_mul_f32_e32 v111, 0x3eedf032, v109
	v_sub_f32_e32 v112, v49, v48
	v_add_f32_e32 v0, v19, v2
	v_fmamk_f32 v2, v11, 0x3e750f2a, v110
	v_mul_f32_e32 v113, 0x3f62ad3f, v44
	v_fma_f32 v3, 0x3f62ad3f, v18, -v111
	v_add_f32_e32 v19, v105, v104
	v_mul_f32_e32 v114, 0xbf6f5d39, v112
	v_add_f32_e32 v2, v9, v2
	v_fmamk_f32 v115, v10, 0xbeedf032, v113
	v_mul_f32_e32 v116, 0xbf3f9e67, v54
	v_add_f32_e32 v0, v3, v0
	v_fma_f32 v3, 0xbeb58ec6, v19, -v114
	v_mul_f32_e32 v117, 0xbe750f2a, v106
	v_add_f32_e32 v2, v115, v2
	v_fmamk_f32 v115, v13, 0x3f29c268, v116
	v_mul_f32_e32 v118, 0x3f116cb1, v38
	v_add_f32_e32 v0, v3, v0
	v_fmamk_f32 v3, v14, 0xbf788fa5, v117
	;; [unrolled: 3-line block ×5, first 2 shown]
	v_mul_f32_e32 v123, 0x3df6dbef, v108
	v_fma_f32 v99, 0xbf3f9e67, v46, -v99
	v_add_f32_e32 v3, v121, v3
	v_fmamk_f32 v121, v17, 0xbf3f9e67, v122
	v_mul_f32_e32 v124, 0x3f52af12, v51
	v_add_f32_e32 v2, v115, v2
	v_fmamk_f32 v115, v6, 0xbf7e222b, v123
	v_add_f32_e32 v99, v9, v99
	v_fma_f32 v23, 0x3df6dbef, v44, -v23
	v_fmac_f32_e32 v36, 0xbf3f9e67, v14
	v_add_f32_e32 v121, v121, v3
	v_fmamk_f32 v125, v16, 0x3f116cb1, v124
	v_add_f32_e32 v3, v115, v2
	v_mul_f32_e32 v115, 0xbf6f5d39, v109
	v_add_f32_e32 v23, v23, v99
	v_fma_f32 v53, 0x3f116cb1, v54, -v53
	v_add_f32_e32 v36, v8, v36
	v_fmac_f32_e32 v37, 0x3df6dbef, v15
	v_add_f32_e32 v2, v125, v121
	v_fmamk_f32 v99, v18, 0xbeb58ec6, v115
	v_mul_f32_e32 v121, 0x3f7e222b, v112
	v_add_f32_e32 v23, v53, v23
	v_fma_f32 v20, 0xbf788fa5, v38, -v20
	v_add_f32_e32 v36, v37, v36
	v_fmac_f32_e32 v4, 0x3f116cb1, v17
	v_add_f32_e32 v2, v99, v2
	v_fmamk_f32 v53, v19, 0x3df6dbef, v121
	v_add_f32_e32 v20, v20, v23
	v_fma_f32 v21, 0x3f62ad3f, v103, -v21
	v_mul_f32_e32 v99, 0xbeb58ec6, v46
	v_add_f32_e32 v4, v4, v36
	v_fmac_f32_e32 v39, 0xbf788fa5, v16
	v_add_f32_e32 v2, v53, v2
	v_add_f32_e32 v20, v21, v20
	v_fmamk_f32 v21, v11, 0x3f6f5d39, v99
	v_mul_f32_e32 v53, 0xbf3f9e67, v44
	v_add_f32_e32 v4, v39, v4
	v_fmac_f32_e32 v111, 0x3f62ad3f, v18
	v_fma_f32 v5, 0xbeb58ec6, v108, -v5
	v_add_f32_e32 v21, v9, v21
	v_fmamk_f32 v23, v10, 0xbf29c268, v53
	v_mul_f32_e32 v125, 0x3f62ad3f, v54
	v_add_f32_e32 v4, v111, v4
	v_mul_f32_e32 v111, 0xbf6f5d39, v106
	v_add_f32_e32 v5, v5, v20
	v_add_f32_e32 v20, v23, v21
	v_fmamk_f32 v21, v13, 0xbeedf032, v125
	v_mul_f32_e32 v126, 0x3df6dbef, v38
	v_fmamk_f32 v23, v14, 0xbeb58ec6, v111
	v_mul_f32_e32 v127, 0x3f29c268, v107
	v_fmac_f32_e32 v114, 0xbeb58ec6, v19
	v_add_f32_e32 v20, v21, v20
	v_fmamk_f32 v21, v12, 0x3f7e222b, v126
	v_mul_f32_e32 v128, 0xbf788fa5, v103
	v_add_f32_e32 v23, v8, v23
	v_fmamk_f32 v36, v15, 0xbf3f9e67, v127
	v_mul_f32_e32 v129, 0x3eedf032, v50
	v_add_f32_e32 v20, v21, v20
	v_fmamk_f32 v21, v7, 0xbe750f2a, v128
	v_add_f32_e32 v4, v114, v4
	v_add_f32_e32 v23, v36, v23
	v_fmamk_f32 v36, v17, 0x3f62ad3f, v129
	v_mul_f32_e32 v114, 0xbf7e222b, v51
	v_mul_f32_e32 v130, 0x3f116cb1, v108
	;; [unrolled: 1-line block ×3, first 2 shown]
	v_add_f32_e32 v20, v21, v20
	v_add_f32_e32 v21, v36, v23
	v_fmamk_f32 v23, v16, 0x3df6dbef, v114
	v_fmamk_f32 v36, v6, 0xbf52af12, v130
	;; [unrolled: 1-line block ×3, first 2 shown]
	v_mul_f32_e32 v133, 0xbf788fa5, v44
	v_mul_f32_e32 v132, 0x3e750f2a, v109
	v_add_f32_e32 v23, v23, v21
	v_add_f32_e32 v21, v36, v20
	;; [unrolled: 1-line block ×3, first 2 shown]
	v_fmamk_f32 v36, v10, 0x3e750f2a, v133
	v_mul_f32_e32 v134, 0xbeb58ec6, v54
	v_fmamk_f32 v39, v18, 0xbf788fa5, v132
	v_mul_f32_e32 v136, 0xbf7e222b, v106
	v_mul_f32_e32 v137, 0x3f62ad3f, v38
	v_add_f32_e32 v20, v36, v20
	v_fmamk_f32 v36, v13, 0xbf6f5d39, v134
	v_add_f32_e32 v23, v39, v23
	v_mul_f32_e32 v135, 0x3f52af12, v112
	v_fmamk_f32 v39, v14, 0x3df6dbef, v136
	v_mul_f32_e32 v138, 0xbe750f2a, v107
	v_add_f32_e32 v20, v36, v20
	v_fmamk_f32 v36, v12, 0xbeedf032, v137
	v_mul_f32_e32 v139, 0x3f116cb1, v103
	v_fmamk_f32 v37, v19, 0x3f116cb1, v135
	v_add_f32_e32 v39, v8, v39
	v_fmamk_f32 v140, v15, 0xbf788fa5, v138
	v_mul_f32_e32 v141, 0x3f6f5d39, v50
	v_add_f32_e32 v36, v36, v20
	v_fmamk_f32 v142, v7, 0x3f52af12, v139
	v_add_f32_e32 v20, v37, v23
	v_add_f32_e32 v23, v140, v39
	v_fmamk_f32 v37, v17, 0xbeb58ec6, v141
	v_mul_f32_e32 v140, 0x3eedf032, v51
	v_add_f32_e32 v36, v142, v36
	v_mul_f32_e32 v142, 0x3f116cb1, v46
	v_mul_f32_e32 v143, 0xbf3f9e67, v108
	v_add_f32_e32 v23, v37, v23
	v_fmamk_f32 v37, v16, 0x3f62ad3f, v140
	v_mul_f32_e32 v144, 0xbf52af12, v109
	v_fmamk_f32 v39, v11, 0x3f52af12, v142
	v_mul_f32_e32 v145, 0xbeb58ec6, v44
	v_fmamk_f32 v146, v6, 0x3f29c268, v143
	v_add_f32_e32 v23, v37, v23
	v_fmamk_f32 v147, v18, 0x3f116cb1, v144
	v_add_f32_e32 v39, v9, v39
	v_fmamk_f32 v148, v10, 0x3f6f5d39, v145
	v_mul_f32_e32 v149, 0xbf788fa5, v54
	v_add_f32_e32 v37, v146, v36
	v_mul_f32_e32 v146, 0xbf52af12, v106
	v_add_f32_e32 v23, v147, v23
	v_add_f32_e32 v36, v148, v39
	v_fmamk_f32 v39, v13, 0x3e750f2a, v149
	v_mul_f32_e32 v147, 0xbf3f9e67, v38
	v_fmamk_f32 v150, v14, 0x3f116cb1, v146
	v_mul_f32_e32 v151, 0xbf6f5d39, v107
	v_mul_f32_e32 v148, 0xbf29c268, v112
	v_add_f32_e32 v36, v39, v36
	v_fmamk_f32 v39, v12, 0xbf29c268, v147
	v_mul_f32_e32 v152, 0x3df6dbef, v103
	v_add_f32_e32 v150, v8, v150
	v_fmamk_f32 v153, v15, 0xbeb58ec6, v151
	v_mul_f32_e32 v154, 0xbe750f2a, v50
	v_fmamk_f32 v155, v19, 0xbf3f9e67, v148
	v_add_f32_e32 v39, v39, v36
	v_fmamk_f32 v156, v7, 0xbf7e222b, v152
	v_add_f32_e32 v150, v153, v150
	v_fmamk_f32 v153, v17, 0xbf788fa5, v154
	v_mul_f32_e32 v157, 0x3f29c268, v51
	v_add_f32_e32 v36, v155, v23
	v_add_f32_e32 v23, v156, v39
	v_mul_f32_e32 v155, 0x3f62ad3f, v108
	v_add_f32_e32 v39, v153, v150
	v_fmamk_f32 v150, v16, 0xbf3f9e67, v157
	v_mul_f32_e32 v153, 0x3f7e222b, v109
	v_mul_f32_e32 v46, 0x3f62ad3f, v46
	v_fmamk_f32 v160, v6, 0xbeedf032, v155
	v_mul_f32_e32 v44, 0x3f116cb1, v44
	v_add_f32_e32 v39, v150, v39
	v_fmamk_f32 v150, v18, 0x3df6dbef, v153
	v_fmamk_f32 v156, v11, 0x3eedf032, v46
	v_mul_f32_e32 v158, 0x3eedf032, v112
	v_fmamk_f32 v159, v10, 0x3f52af12, v44
	v_mul_f32_e32 v54, 0x3df6dbef, v54
	v_add_f32_e32 v150, v150, v39
	v_add_f32_e32 v39, v160, v23
	;; [unrolled: 1-line block ×4, first 2 shown]
	v_fmamk_f32 v161, v19, 0x3f62ad3f, v158
	v_mul_f32_e32 v162, 0xbeb58ec6, v38
	v_mul_f32_e32 v103, 0xbf3f9e67, v103
	v_add_f32_e32 v23, v47, v23
	v_add_f32_e32 v47, v8, v98
	;; [unrolled: 1-line block ×3, first 2 shown]
	v_fmamk_f32 v159, v13, 0x3f7e222b, v54
	v_add_f32_e32 v38, v161, v150
	v_add_f32_e32 v23, v45, v23
	v_add_f32_e32 v45, v87, v47
	v_fmamk_f32 v150, v12, 0x3f6f5d39, v162
	v_add_f32_e32 v88, v159, v156
	v_mul_f32_e32 v106, 0xbeedf032, v106
	v_add_f32_e32 v23, v102, v23
	v_add_f32_e32 v45, v52, v45
	v_fmamk_f32 v98, v7, 0x3f29c268, v103
	v_add_f32_e32 v88, v150, v88
	v_fmamk_f32 v150, v14, 0x3f62ad3f, v106
	v_mul_f32_e32 v47, 0xbf52af12, v107
	v_add_f32_e32 v23, v41, v23
	v_add_f32_e32 v41, v55, v45
	;; [unrolled: 1-line block ×4, first 2 shown]
	v_fmamk_f32 v52, v15, 0x3f116cb1, v47
	v_mul_f32_e32 v50, 0xbf7e222b, v50
	v_add_f32_e32 v23, v49, v23
	v_add_f32_e32 v41, v42, v41
	v_mul_f32_e32 v98, 0xbf788fa5, v108
	v_add_f32_e32 v45, v52, v88
	v_fmamk_f32 v52, v17, 0x3df6dbef, v50
	v_mul_f32_e32 v51, 0xbf6f5d39, v51
	v_add_f32_e32 v48, v48, v23
	v_add_f32_e32 v41, v104, v41
	v_fmamk_f32 v42, v6, 0x3e750f2a, v98
	v_add_f32_e32 v45, v52, v45
	v_fmamk_f32 v49, v16, 0xbeb58ec6, v51
	v_mul_f32_e32 v52, 0xbf29c268, v109
	v_add_f32_e32 v40, v40, v48
	v_add_f32_e32 v41, v105, v41
	v_fmac_f32_e32 v110, 0xbe750f2a, v11
	v_add_f32_e32 v23, v42, v87
	v_add_f32_e32 v42, v49, v45
	v_fmamk_f32 v45, v18, 0xbf3f9e67, v52
	v_mul_f32_e32 v48, 0xbe750f2a, v112
	v_add_f32_e32 v40, v43, v40
	v_add_f32_e32 v41, v101, v41
	;; [unrolled: 1-line block ×3, first 2 shown]
	v_fmac_f32_e32 v113, 0x3eedf032, v10
	v_add_f32_e32 v42, v45, v42
	v_fmamk_f32 v45, v19, 0xbf788fa5, v48
	v_add_f32_e32 v40, v22, v40
	v_add_f32_e32 v41, v100, v41
	;; [unrolled: 1-line block ×3, first 2 shown]
	v_fmac_f32_e32 v116, 0xbf29c268, v13
	v_add_f32_e32 v22, v45, v42
	v_fma_f32 v42, 0xbf788fa5, v14, -v117
	v_add_f32_e32 v24, v24, v40
	v_add_f32_e32 v40, v25, v41
	;; [unrolled: 1-line block ×3, first 2 shown]
	v_fmac_f32_e32 v118, 0x3f52af12, v12
	v_add_f32_e32 v42, v8, v42
	v_fma_f32 v43, 0x3f62ad3f, v15, -v119
	v_add_f32_e32 v25, v26, v24
	v_fmac_f32_e32 v120, 0xbf6f5d39, v7
	v_add_f32_e32 v26, v118, v41
	v_add_f32_e32 v24, v27, v40
	;; [unrolled: 1-line block ×3, first 2 shown]
	v_fma_f32 v40, 0xbf3f9e67, v17, -v122
	v_fmac_f32_e32 v99, 0xbf6f5d39, v11
	v_add_f32_e32 v26, v120, v26
	v_fmac_f32_e32 v123, 0x3f7e222b, v6
	v_fma_f32 v41, 0x3f116cb1, v16, -v124
	v_add_f32_e32 v40, v40, v27
	v_add_f32_e32 v42, v9, v99
	v_fmac_f32_e32 v53, 0x3f29c268, v10
	v_add_f32_e32 v27, v123, v26
	v_fma_f32 v26, 0xbeb58ec6, v14, -v111
	v_add_f32_e32 v40, v41, v40
	v_fma_f32 v41, 0xbeb58ec6, v18, -v115
	v_add_f32_e32 v42, v53, v42
	v_fmac_f32_e32 v125, 0x3eedf032, v13
	v_add_f32_e32 v26, v8, v26
	v_fma_f32 v43, 0xbf3f9e67, v15, -v127
	v_add_f32_e32 v40, v41, v40
	v_fma_f32 v41, 0x3df6dbef, v19, -v121
	v_add_f32_e32 v42, v125, v42
	v_fmac_f32_e32 v126, 0xbf7e222b, v12
	v_add_f32_e32 v43, v43, v26
	v_fma_f32 v45, 0x3f62ad3f, v17, -v129
	v_fmac_f32_e32 v131, 0xbf7e222b, v11
	v_add_f32_e32 v26, v41, v40
	v_add_f32_e32 v40, v126, v42
	v_fmac_f32_e32 v128, 0x3e750f2a, v7
	v_add_f32_e32 v41, v45, v43
	v_fma_f32 v42, 0x3df6dbef, v16, -v114
	v_add_f32_e32 v43, v9, v131
	v_fmac_f32_e32 v133, 0xbe750f2a, v10
	v_add_f32_e32 v40, v128, v40
	v_fmac_f32_e32 v130, 0x3f52af12, v6
	v_add_f32_e32 v42, v42, v41
	v_fma_f32 v45, 0xbf788fa5, v18, -v132
	v_add_f32_e32 v43, v133, v43
	v_fmac_f32_e32 v134, 0x3f6f5d39, v13
	v_add_f32_e32 v41, v130, v40
	v_fma_f32 v40, 0x3df6dbef, v14, -v136
	v_add_f32_e32 v42, v45, v42
	v_fma_f32 v45, 0x3f116cb1, v19, -v135
	v_add_f32_e32 v43, v134, v43
	v_fmac_f32_e32 v137, 0x3eedf032, v12
	v_add_f32_e32 v49, v8, v40
	v_fma_f32 v53, 0xbf788fa5, v15, -v138
	v_add_f32_e32 v40, v45, v42
	v_fmac_f32_e32 v139, 0xbf52af12, v7
	;; [unrolled: 4-line block ×3, first 2 shown]
	v_fmac_f32_e32 v142, 0xbf52af12, v11
	v_add_f32_e32 v42, v139, v42
	v_fma_f32 v53, 0x3f62ad3f, v16, -v140
	v_add_f32_e32 v45, v45, v43
	v_fmac_f32_e32 v46, 0xbeedf032, v11
	v_add_f32_e32 v49, v9, v142
	v_add_f32_e32 v43, v143, v42
	v_fma_f32 v42, 0x3f116cb1, v14, -v146
	v_fma_f32 v14, 0x3f62ad3f, v14, -v106
	v_fmac_f32_e32 v145, 0xbf6f5d39, v10
	v_add_f32_e32 v45, v53, v45
	v_fma_f32 v53, 0x3f116cb1, v18, -v144
	v_add_f32_e32 v42, v8, v42
	v_fma_f32 v55, 0xbeb58ec6, v15, -v151
	v_add_f32_e32 v9, v9, v46
	v_fmac_f32_e32 v44, 0xbf52af12, v10
	v_add_f32_e32 v8, v8, v14
	v_fma_f32 v14, 0x3f116cb1, v15, -v47
	v_add_f32_e32 v49, v145, v49
	v_fmac_f32_e32 v149, 0xbe750f2a, v13
	v_fmac_f32_e32 v147, 0x3f29c268, v12
	v_add_f32_e32 v45, v53, v45
	v_fma_f32 v53, 0xbf3f9e67, v19, -v148
	v_add_f32_e32 v55, v55, v42
	v_fma_f32 v87, 0xbf788fa5, v17, -v154
	v_add_f32_e32 v9, v44, v9
	v_fmac_f32_e32 v54, 0xbf7e222b, v13
	v_add_f32_e32 v8, v14, v8
	v_fma_f32 v13, 0x3df6dbef, v17, -v50
	v_fmac_f32_e32 v162, 0xbf6f5d39, v12
	v_mov_b32_e32 v12, 0x4e
	v_add_f32_e32 v49, v149, v49
	v_add_f32_e32 v42, v53, v45
	;; [unrolled: 1-line block ×3, first 2 shown]
	v_fma_f32 v10, 0xbf3f9e67, v16, -v157
	v_add_f32_e32 v9, v54, v9
	v_add_f32_e32 v8, v13, v8
	v_fma_f32 v13, 0xbeb58ec6, v16, -v51
	v_mul_u32_u24_sdwa v12, v97, v12 dst_sel:DWORD dst_unused:UNUSED_PAD src0_sel:WORD_0 src1_sel:DWORD
	v_add_f32_e32 v49, v147, v49
	v_fmac_f32_e32 v152, 0x3f7e222b, v7
	v_add_f32_e32 v10, v10, v45
	v_fma_f32 v14, 0x3df6dbef, v18, -v153
	v_add_f32_e32 v9, v162, v9
	v_fmac_f32_e32 v103, 0xbf29c268, v7
	v_add_f32_e32 v7, v13, v8
	v_fma_f32 v8, 0xbf3f9e67, v18, -v52
	v_add_nc_u32_e32 v12, v12, v96
	v_add_f32_e32 v24, v92, v24
	v_add_f32_e32 v11, v152, v49
	v_fmac_f32_e32 v155, 0x3eedf032, v6
	v_add_f32_e32 v10, v14, v10
	v_fma_f32 v13, 0x3f62ad3f, v19, -v158
	v_add_f32_e32 v9, v103, v9
	v_fmac_f32_e32 v98, 0xbe750f2a, v6
	v_add_f32_e32 v8, v8, v7
	v_fma_f32 v14, 0xbf788fa5, v19, -v48
	v_lshl_add_u32 v12, v12, 3, v95
	v_add_f32_e32 v7, v155, v11
	v_add_f32_e32 v6, v13, v10
	;; [unrolled: 1-line block ×4, first 2 shown]
	ds_write2_b64 v12, v[24:25], v[22:23] offset1:6
	ds_write2_b64 v12, v[38:39], v[36:37] offset0:12 offset1:18
	ds_write2_b64 v12, v[20:21], v[4:5] offset0:24 offset1:30
	;; [unrolled: 1-line block ×5, first 2 shown]
	ds_write_b64 v12, v[8:9] offset:576
.LBB0_17:
	s_or_b32 exec_lo, exec_lo, s1
	v_add_nc_u32_e32 v24, 0x800, v94
	v_add_nc_u32_e32 v1, 0xc00, v94
	;; [unrolled: 1-line block ×3, first 2 shown]
	s_waitcnt lgkmcnt(0)
	s_barrier
	buffer_gl0_inv
	ds_read2_b64 v[2:5], v94 offset0:156 offset1:234
	ds_read2_b64 v[6:9], v24 offset0:56 offset1:134
	;; [unrolled: 1-line block ×4, first 2 shown]
	ds_read2_b64 v[18:21], v94 offset1:78
	s_waitcnt lgkmcnt(0)
	s_barrier
	buffer_gl0_inv
	s_mov_b32 s0, 0x15015015
	s_mov_b32 s1, 0x3f550150
	s_mul_hi_u32 s5, s8, 0xfffff640
	s_mul_i32 s4, s9, 0xfffff640
	s_sub_i32 s5, s5, s8
	s_add_i32 s5, s5, s4
	s_mul_i32 s4, s8, 0xfffff640
	v_mul_f32_e32 v27, v35, v7
	v_mul_f32_e32 v22, v33, v3
	;; [unrolled: 1-line block ×6, first 2 shown]
	v_fmac_f32_e32 v22, v32, v2
	v_fma_f32 v23, v32, v3, -v23
	v_mul_f32_e32 v2, v35, v6
	v_mul_f32_e32 v3, v29, v10
	;; [unrolled: 1-line block ×4, first 2 shown]
	v_fmac_f32_e32 v27, v34, v6
	v_fmac_f32_e32 v33, v28, v10
	;; [unrolled: 1-line block ×3, first 2 shown]
	v_fma_f32 v26, v32, v5, -v26
	v_mul_f32_e32 v32, v35, v9
	v_mul_f32_e32 v4, v35, v8
	v_fma_f32 v38, v34, v7, -v2
	v_fma_f32 v39, v28, v11, -v3
	v_fmac_f32_e32 v36, v30, v14
	v_add_f32_e32 v2, v27, v33
	v_fma_f32 v14, v30, v15, -v37
	v_add_f32_e32 v3, v18, v22
	v_mul_f32_e32 v35, v29, v13
	v_mul_f32_e32 v5, v29, v12
	v_fmac_f32_e32 v32, v34, v8
	v_fma_f32 v34, v34, v9, -v4
	v_fma_f32 v2, -0.5, v2, v18
	v_sub_f32_e32 v7, v23, v14
	v_add_f32_e32 v3, v3, v27
	v_sub_f32_e32 v6, v22, v27
	v_sub_f32_e32 v8, v36, v33
	v_add_f32_e32 v9, v22, v36
	v_fmac_f32_e32 v35, v28, v12
	v_fma_f32 v28, v28, v13, -v5
	v_fmamk_f32 v4, v7, 0xbf737871, v2
	v_sub_f32_e32 v5, v38, v39
	v_mul_f32_e32 v10, v31, v16
	v_add_f32_e32 v3, v3, v33
	v_add_f32_e32 v11, v6, v8
	v_fma_f32 v6, -0.5, v9, v18
	v_fmac_f32_e32 v2, 0x3f737871, v7
	v_add_f32_e32 v12, v19, v23
	v_mul_f32_e32 v29, v31, v17
	v_fmac_f32_e32 v4, 0xbf167918, v5
	v_fma_f32 v17, v30, v17, -v10
	v_add_f32_e32 v8, v3, v36
	v_fmamk_f32 v10, v5, 0x3f737871, v6
	v_sub_f32_e32 v3, v27, v22
	v_sub_f32_e32 v9, v33, v36
	v_fmac_f32_e32 v2, 0x3f167918, v5
	v_add_f32_e32 v13, v38, v39
	v_fmac_f32_e32 v6, 0xbf737871, v5
	v_add_f32_e32 v5, v12, v38
	v_fmac_f32_e32 v29, v30, v16
	v_fmac_f32_e32 v4, 0x3e9e377a, v11
	v_fmac_f32_e32 v10, 0xbf167918, v7
	v_add_f32_e32 v9, v3, v9
	v_fma_f32 v3, -0.5, v13, v19
	v_sub_f32_e32 v13, v22, v36
	v_fmac_f32_e32 v2, 0x3e9e377a, v11
	v_fmac_f32_e32 v6, 0x3f167918, v7
	v_add_f32_e32 v11, v5, v39
	v_add_f32_e32 v7, v23, v14
	v_sub_f32_e32 v15, v23, v38
	v_sub_f32_e32 v16, v14, v39
	v_fmac_f32_e32 v10, 0x3e9e377a, v9
	v_fmamk_f32 v5, v13, 0x3f737871, v3
	v_sub_f32_e32 v12, v27, v33
	v_fmac_f32_e32 v6, 0x3e9e377a, v9
	v_fma_f32 v7, -0.5, v7, v19
	v_add_f32_e32 v9, v11, v14
	v_add_f32_e32 v15, v15, v16
	v_fmac_f32_e32 v3, 0xbf737871, v13
	v_sub_f32_e32 v16, v38, v23
	v_sub_f32_e32 v14, v39, v14
	v_add_f32_e32 v18, v32, v35
	v_fmac_f32_e32 v5, 0x3f167918, v12
	v_fmamk_f32 v11, v12, 0xbf737871, v7
	v_fmac_f32_e32 v3, 0xbf167918, v12
	v_add_f32_e32 v16, v16, v14
	v_fmac_f32_e32 v7, 0x3f737871, v12
	v_add_f32_e32 v14, v20, v25
	v_fma_f32 v12, -0.5, v18, v20
	v_sub_f32_e32 v19, v26, v17
	v_fmac_f32_e32 v5, 0x3e9e377a, v15
	v_fmac_f32_e32 v11, 0x3f167918, v13
	;; [unrolled: 1-line block ×4, first 2 shown]
	v_add_f32_e32 v13, v14, v32
	v_fmamk_f32 v14, v19, 0xbf737871, v12
	v_sub_f32_e32 v15, v34, v28
	v_sub_f32_e32 v18, v25, v32
	;; [unrolled: 1-line block ×3, first 2 shown]
	v_fmac_f32_e32 v12, 0x3f737871, v19
	v_add_f32_e32 v23, v25, v29
	v_add_f32_e32 v13, v13, v35
	v_fmac_f32_e32 v14, 0xbf167918, v15
	v_add_f32_e32 v18, v18, v22
	v_fmac_f32_e32 v12, 0x3f167918, v15
	v_fma_f32 v20, -0.5, v23, v20
	v_sub_f32_e32 v22, v32, v25
	v_sub_f32_e32 v23, v35, v29
	v_fmac_f32_e32 v11, 0x3e9e377a, v16
	v_fmac_f32_e32 v7, 0x3e9e377a, v16
	v_add_f32_e32 v16, v13, v29
	v_fmac_f32_e32 v14, 0x3e9e377a, v18
	v_fmac_f32_e32 v12, 0x3e9e377a, v18
	v_fmamk_f32 v18, v15, 0x3f737871, v20
	v_add_f32_e32 v13, v34, v28
	v_fmac_f32_e32 v20, 0xbf737871, v15
	v_add_f32_e32 v15, v21, v26
	v_add_f32_e32 v22, v22, v23
	;; [unrolled: 1-line block ×3, first 2 shown]
	v_fma_f32 v13, -0.5, v13, v21
	v_sub_f32_e32 v25, v25, v29
	v_fmac_f32_e32 v18, 0xbf167918, v19
	v_fmac_f32_e32 v20, 0x3f167918, v19
	v_add_f32_e32 v19, v15, v34
	v_sub_f32_e32 v27, v32, v35
	v_fmac_f32_e32 v21, -0.5, v23
	v_fmamk_f32 v15, v25, 0x3f737871, v13
	v_fmac_f32_e32 v18, 0x3e9e377a, v22
	v_fmac_f32_e32 v20, 0x3e9e377a, v22
	v_add_f32_e32 v22, v19, v28
	v_sub_f32_e32 v23, v26, v34
	v_sub_f32_e32 v29, v17, v28
	v_fmamk_f32 v19, v27, 0xbf737871, v21
	v_sub_f32_e32 v26, v34, v26
	v_sub_f32_e32 v28, v28, v17
	v_fmac_f32_e32 v13, 0xbf737871, v25
	v_fmac_f32_e32 v21, 0x3f737871, v27
	;; [unrolled: 1-line block ×3, first 2 shown]
	v_add_f32_e32 v23, v23, v29
	v_fmac_f32_e32 v19, 0x3f167918, v25
	v_add_f32_e32 v26, v26, v28
	v_fmac_f32_e32 v13, 0xbf167918, v27
	v_fmac_f32_e32 v21, 0xbf167918, v25
	v_add_f32_e32 v17, v22, v17
	v_fmac_f32_e32 v15, 0x3e9e377a, v23
	v_fmac_f32_e32 v19, 0x3e9e377a, v26
	;; [unrolled: 1-line block ×4, first 2 shown]
	ds_write2_b64 v94, v[8:9], v[4:5] offset1:78
	ds_write2_b64 v94, v[10:11], v[6:7] offset0:156 offset1:234
	ds_write2_b64 v24, v[2:3], v[16:17] offset0:56 offset1:134
	;; [unrolled: 1-line block ×4, first 2 shown]
	s_waitcnt lgkmcnt(0)
	s_barrier
	buffer_gl0_inv
	ds_read2_b64 v[2:5], v24 offset0:56 offset1:134
	ds_read2_b64 v[6:9], v1 offset0:84 offset1:162
	;; [unrolled: 1-line block ×3, first 2 shown]
	ds_read2_b64 v[14:17], v94 offset1:78
	ds_read2_b64 v[18:21], v94 offset0:156 offset1:234
	s_waitcnt lgkmcnt(4)
	v_mul_f32_e32 v22, v86, v5
	v_mul_f32_e32 v23, v86, v4
	s_waitcnt lgkmcnt(3)
	v_mul_f32_e32 v25, v84, v7
	v_mul_f32_e32 v26, v84, v6
	;; [unrolled: 1-line block ×3, first 2 shown]
	v_fmac_f32_e32 v22, v85, v4
	v_fma_f32 v5, v85, v5, -v23
	v_fmac_f32_e32 v25, v83, v6
	v_fma_f32 v7, v83, v7, -v26
	v_mul_f32_e32 v4, v78, v8
	s_waitcnt lgkmcnt(2)
	v_mul_f32_e32 v23, v80, v11
	v_mul_f32_e32 v6, v80, v10
	v_fmac_f32_e32 v27, v77, v8
	v_mul_f32_e32 v26, v82, v13
	v_mul_f32_e32 v8, v82, v12
	v_fma_f32 v28, v77, v9, -v4
	v_fmac_f32_e32 v23, v79, v10
	v_fma_f32 v29, v79, v11, -v6
	s_waitcnt lgkmcnt(1)
	v_sub_f32_e32 v6, v16, v25
	v_sub_f32_e32 v7, v17, v7
	v_fmac_f32_e32 v26, v81, v12
	v_fma_f32 v30, v81, v13, -v8
	v_sub_f32_e32 v4, v14, v22
	v_sub_f32_e32 v5, v15, v5
	s_waitcnt lgkmcnt(0)
	v_sub_f32_e32 v10, v18, v27
	v_fma_f32 v12, v16, 2.0, -v6
	v_fma_f32 v13, v17, 2.0, -v7
	v_sub_f32_e32 v11, v19, v28
	v_sub_f32_e32 v16, v20, v23
	;; [unrolled: 1-line block ×5, first 2 shown]
	v_fma_f32 v8, v14, 2.0, -v4
	v_fma_f32 v9, v15, 2.0, -v5
	;; [unrolled: 1-line block ×8, first 2 shown]
	ds_write2_b64 v94, v[8:9], v[12:13] offset1:78
	ds_write_b64 v94, v[6:7] offset:3744
	ds_write_b64 v91, v[10:11] offset:3120
	ds_write2_b64 v94, v[14:15], v[18:19] offset0:156 offset1:234
	ds_write_b64 v90, v[16:17] offset:3120
	ds_write2_b64 v24, v[2:3], v[4:5] offset0:56 offset1:134
	ds_write_b64 v89, v[22:23] offset:3120
	s_waitcnt lgkmcnt(0)
	s_barrier
	buffer_gl0_inv
	ds_read2_b64 v[2:5], v94 offset1:78
	ds_read2_b64 v[6:9], v24 offset0:56 offset1:134
	v_mad_u64_u32 v[19:20], null, s8, v93, 0
	s_waitcnt lgkmcnt(1)
	v_mul_f32_e32 v10, v72, v3
	s_waitcnt lgkmcnt(0)
	v_mul_f32_e32 v14, v76, v9
	v_mul_f32_e32 v12, v76, v8
	;; [unrolled: 1-line block ×4, first 2 shown]
	v_fmac_f32_e32 v10, v71, v2
	v_fmac_f32_e32 v14, v75, v8
	v_fma_f32 v15, v75, v9, -v12
	v_fma_f32 v11, v71, v3, -v11
	v_mad_u64_u32 v[12:13], null, s10, v62, 0
	v_cvt_f64_f32_e32 v[8:9], v14
	v_cvt_f64_f32_e32 v[2:3], v10
	;; [unrolled: 1-line block ×4, first 2 shown]
	v_fmac_f32_e32 v23, v69, v4
	v_mul_f32_e32 v30, v66, v6
	v_cvt_f64_f32_e32 v[23:24], v23
	v_fma_f32 v30, v65, v7, -v30
	v_mul_f64 v[21:22], v[8:9], s[0:1]
	v_mul_f64 v[2:3], v[2:3], s[0:1]
	v_mad_u64_u32 v[16:17], null, s11, v62, v[13:14]
	v_mul_f64 v[17:18], v[10:11], s[0:1]
	ds_read2_b64 v[8:11], v1 offset0:84 offset1:162
	v_mul_f64 v[14:15], v[14:15], s[0:1]
	v_mul_f32_e32 v1, v70, v4
	v_mov_b32_e32 v13, v16
	v_fma_f32 v5, v69, v5, -v1
	v_lshlrev_b64 v[12:13], 3, v[12:13]
	v_mad_u64_u32 v[25:26], null, s9, v93, v[20:21]
	v_cvt_f32_f64_e32 v16, v[2:3]
	s_waitcnt lgkmcnt(0)
	v_mul_f32_e32 v2, v74, v8
	v_add_co_u32 v26, vcc_lo, s2, v12
	v_cvt_f32_f64_e32 v17, v[17:18]
	v_add_co_ci_u32_e32 v27, vcc_lo, s3, v13, vcc_lo
	v_mov_b32_e32 v20, v25
	v_cvt_f32_f64_e32 v18, v[21:22]
	s_mul_i32 s2, s9, 0xc30
	s_mul_hi_u32 s3, s8, 0xc30
	v_lshlrev_b64 v[12:13], 3, v[19:20]
	v_cvt_f32_f64_e32 v19, v[14:15]
	v_mul_f32_e32 v14, v74, v9
	v_fma_f32 v15, v73, v9, -v2
	ds_read2_b64 v[1:4], v94 offset0:156 offset1:234
	v_mul_f64 v[20:21], v[23:24], s[0:1]
	v_add_co_u32 v26, vcc_lo, v26, v12
	v_fmac_f32_e32 v14, v73, v8
	v_add_co_ci_u32_e32 v27, vcc_lo, v27, v13, vcc_lo
	s_add_i32 s3, s3, s2
	s_mul_i32 s2, s8, 0xc30
	v_cvt_f64_f32_e32 v[22:23], v14
	v_cvt_f64_f32_e32 v[24:25], v15
	v_add_co_u32 v28, vcc_lo, v26, s2
	v_add_co_ci_u32_e32 v29, vcc_lo, s3, v27, vcc_lo
	ds_read2_b64 v[12:15], v0 offset0:112 offset1:190
	v_cvt_f64_f32_e32 v[8:9], v5
	global_store_dwordx2 v[26:27], v[16:17], off
	global_store_dwordx2 v[28:29], v[18:19], off
	s_waitcnt lgkmcnt(1)
	v_mul_f32_e32 v5, v57, v2
	v_mul_f32_e32 v16, v57, v1
	v_cvt_f32_f64_e32 v0, v[20:21]
	v_fmac_f32_e32 v5, v56, v1
	v_fma_f32 v1, v56, v2, -v16
	v_mul_f32_e32 v2, v64, v10
	v_cvt_f64_f32_e32 v[20:21], v5
	v_mul_f64 v[16:17], v[22:23], s[0:1]
	v_cvt_f64_f32_e32 v[22:23], v1
	v_mul_f32_e32 v1, v64, v11
	v_mul_f64 v[18:19], v[24:25], s[0:1]
	v_mul_f32_e32 v24, v61, v4
	s_waitcnt lgkmcnt(0)
	v_mul_f32_e32 v26, v59, v13
	v_mul_f32_e32 v5, v61, v3
	v_fmac_f32_e32 v1, v63, v10
	v_fma_f32 v10, v63, v11, -v2
	v_fmac_f32_e32 v24, v60, v3
	v_fmac_f32_e32 v26, v58, v12
	v_mul_f64 v[8:9], v[8:9], s[0:1]
	v_cvt_f64_f32_e32 v[2:3], v1
	v_mul_f32_e32 v1, v59, v12
	v_mul_f32_e32 v12, v66, v7
	;; [unrolled: 1-line block ×4, first 2 shown]
	v_fma_f32 v25, v60, v4, -v5
	v_fma_f32 v1, v58, v13, -v1
	v_fmac_f32_e32 v12, v65, v6
	v_cvt_f64_f32_e32 v[4:5], v10
	v_fmac_f32_e32 v31, v67, v14
	v_fma_f32 v32, v67, v15, -v32
	v_cvt_f64_f32_e32 v[10:11], v24
	v_cvt_f64_f32_e32 v[24:25], v25
	;; [unrolled: 1-line block ×8, first 2 shown]
	v_cvt_f32_f64_e32 v16, v[16:17]
	v_cvt_f32_f64_e32 v17, v[18:19]
	;; [unrolled: 1-line block ×3, first 2 shown]
	v_mul_f64 v[8:9], v[20:21], s[0:1]
	v_mul_f64 v[20:21], v[22:23], s[0:1]
	;; [unrolled: 1-line block ×3, first 2 shown]
	v_add_co_u32 v22, vcc_lo, v28, s4
	v_add_co_ci_u32_e32 v23, vcc_lo, s5, v29, vcc_lo
	v_mul_f64 v[4:5], v[4:5], s[0:1]
	v_mul_f64 v[10:11], v[10:11], s[0:1]
	v_mul_f64 v[18:19], v[24:25], s[0:1]
	v_mul_f64 v[24:25], v[26:27], s[0:1]
	v_mul_f64 v[6:7], v[6:7], s[0:1]
	v_mul_f64 v[12:13], v[12:13], s[0:1]
	v_mul_f64 v[14:15], v[14:15], s[0:1]
	v_mul_f64 v[26:27], v[30:31], s[0:1]
	v_mul_f64 v[28:29], v[32:33], s[0:1]
	v_add_co_u32 v30, vcc_lo, v22, s2
	v_add_co_ci_u32_e32 v31, vcc_lo, s3, v23, vcc_lo
	v_cvt_f32_f64_e32 v8, v[8:9]
	v_cvt_f32_f64_e32 v9, v[20:21]
	v_add_co_u32 v20, vcc_lo, v30, s4
	v_add_co_ci_u32_e32 v21, vcc_lo, s5, v31, vcc_lo
	v_cvt_f32_f64_e32 v2, v[2:3]
	v_cvt_f32_f64_e32 v3, v[4:5]
	;; [unrolled: 4-line block ×3, first 2 shown]
	v_cvt_f32_f64_e32 v18, v[24:25]
	v_cvt_f32_f64_e32 v19, v[6:7]
	;; [unrolled: 1-line block ×6, first 2 shown]
	v_add_co_u32 v14, vcc_lo, v4, s4
	v_add_co_ci_u32_e32 v15, vcc_lo, s5, v5, vcc_lo
	global_store_dwordx2 v[22:23], v[0:1], off
	v_add_co_u32 v0, vcc_lo, v14, s2
	v_add_co_ci_u32_e32 v1, vcc_lo, s3, v15, vcc_lo
	global_store_dwordx2 v[30:31], v[16:17], off
	;; [unrolled: 3-line block ×4, first 2 shown]
	global_store_dwordx2 v[14:15], v[10:11], off
	global_store_dwordx2 v[0:1], v[18:19], off
	;; [unrolled: 1-line block ×4, first 2 shown]
.LBB0_18:
	s_endpgm
	.section	.rodata,"a",@progbits
	.p2align	6, 0x0
	.amdhsa_kernel bluestein_single_back_len780_dim1_sp_op_CI_CI
		.amdhsa_group_segment_fixed_size 18720
		.amdhsa_private_segment_fixed_size 0
		.amdhsa_kernarg_size 104
		.amdhsa_user_sgpr_count 6
		.amdhsa_user_sgpr_private_segment_buffer 1
		.amdhsa_user_sgpr_dispatch_ptr 0
		.amdhsa_user_sgpr_queue_ptr 0
		.amdhsa_user_sgpr_kernarg_segment_ptr 1
		.amdhsa_user_sgpr_dispatch_id 0
		.amdhsa_user_sgpr_flat_scratch_init 0
		.amdhsa_user_sgpr_private_segment_size 0
		.amdhsa_wavefront_size32 1
		.amdhsa_uses_dynamic_stack 0
		.amdhsa_system_sgpr_private_segment_wavefront_offset 0
		.amdhsa_system_sgpr_workgroup_id_x 1
		.amdhsa_system_sgpr_workgroup_id_y 0
		.amdhsa_system_sgpr_workgroup_id_z 0
		.amdhsa_system_sgpr_workgroup_info 0
		.amdhsa_system_vgpr_workitem_id 0
		.amdhsa_next_free_vgpr 218
		.amdhsa_next_free_sgpr 20
		.amdhsa_reserve_vcc 1
		.amdhsa_reserve_flat_scratch 0
		.amdhsa_float_round_mode_32 0
		.amdhsa_float_round_mode_16_64 0
		.amdhsa_float_denorm_mode_32 3
		.amdhsa_float_denorm_mode_16_64 3
		.amdhsa_dx10_clamp 1
		.amdhsa_ieee_mode 1
		.amdhsa_fp16_overflow 0
		.amdhsa_workgroup_processor_mode 1
		.amdhsa_memory_ordered 1
		.amdhsa_forward_progress 0
		.amdhsa_shared_vgpr_count 0
		.amdhsa_exception_fp_ieee_invalid_op 0
		.amdhsa_exception_fp_denorm_src 0
		.amdhsa_exception_fp_ieee_div_zero 0
		.amdhsa_exception_fp_ieee_overflow 0
		.amdhsa_exception_fp_ieee_underflow 0
		.amdhsa_exception_fp_ieee_inexact 0
		.amdhsa_exception_int_div_zero 0
	.end_amdhsa_kernel
	.text
.Lfunc_end0:
	.size	bluestein_single_back_len780_dim1_sp_op_CI_CI, .Lfunc_end0-bluestein_single_back_len780_dim1_sp_op_CI_CI
                                        ; -- End function
	.section	.AMDGPU.csdata,"",@progbits
; Kernel info:
; codeLenInByte = 13828
; NumSgprs: 22
; NumVgprs: 218
; ScratchSize: 0
; MemoryBound: 0
; FloatMode: 240
; IeeeMode: 1
; LDSByteSize: 18720 bytes/workgroup (compile time only)
; SGPRBlocks: 2
; VGPRBlocks: 27
; NumSGPRsForWavesPerEU: 22
; NumVGPRsForWavesPerEU: 218
; Occupancy: 4
; WaveLimiterHint : 1
; COMPUTE_PGM_RSRC2:SCRATCH_EN: 0
; COMPUTE_PGM_RSRC2:USER_SGPR: 6
; COMPUTE_PGM_RSRC2:TRAP_HANDLER: 0
; COMPUTE_PGM_RSRC2:TGID_X_EN: 1
; COMPUTE_PGM_RSRC2:TGID_Y_EN: 0
; COMPUTE_PGM_RSRC2:TGID_Z_EN: 0
; COMPUTE_PGM_RSRC2:TIDIG_COMP_CNT: 0
	.text
	.p2alignl 6, 3214868480
	.fill 48, 4, 3214868480
	.type	__hip_cuid_da2c116435d70a87,@object ; @__hip_cuid_da2c116435d70a87
	.section	.bss,"aw",@nobits
	.globl	__hip_cuid_da2c116435d70a87
__hip_cuid_da2c116435d70a87:
	.byte	0                               ; 0x0
	.size	__hip_cuid_da2c116435d70a87, 1

	.ident	"AMD clang version 19.0.0git (https://github.com/RadeonOpenCompute/llvm-project roc-6.4.0 25133 c7fe45cf4b819c5991fe208aaa96edf142730f1d)"
	.section	".note.GNU-stack","",@progbits
	.addrsig
	.addrsig_sym __hip_cuid_da2c116435d70a87
	.amdgpu_metadata
---
amdhsa.kernels:
  - .args:
      - .actual_access:  read_only
        .address_space:  global
        .offset:         0
        .size:           8
        .value_kind:     global_buffer
      - .actual_access:  read_only
        .address_space:  global
        .offset:         8
        .size:           8
        .value_kind:     global_buffer
      - .actual_access:  read_only
        .address_space:  global
        .offset:         16
        .size:           8
        .value_kind:     global_buffer
      - .actual_access:  read_only
        .address_space:  global
        .offset:         24
        .size:           8
        .value_kind:     global_buffer
      - .actual_access:  read_only
        .address_space:  global
        .offset:         32
        .size:           8
        .value_kind:     global_buffer
      - .offset:         40
        .size:           8
        .value_kind:     by_value
      - .address_space:  global
        .offset:         48
        .size:           8
        .value_kind:     global_buffer
      - .address_space:  global
        .offset:         56
        .size:           8
        .value_kind:     global_buffer
      - .address_space:  global
        .offset:         64
        .size:           8
        .value_kind:     global_buffer
      - .address_space:  global
        .offset:         72
        .size:           8
        .value_kind:     global_buffer
      - .offset:         80
        .size:           4
        .value_kind:     by_value
      - .address_space:  global
        .offset:         88
        .size:           8
        .value_kind:     global_buffer
      - .address_space:  global
        .offset:         96
        .size:           8
        .value_kind:     global_buffer
    .group_segment_fixed_size: 18720
    .kernarg_segment_align: 8
    .kernarg_segment_size: 104
    .language:       OpenCL C
    .language_version:
      - 2
      - 0
    .max_flat_workgroup_size: 234
    .name:           bluestein_single_back_len780_dim1_sp_op_CI_CI
    .private_segment_fixed_size: 0
    .sgpr_count:     22
    .sgpr_spill_count: 0
    .symbol:         bluestein_single_back_len780_dim1_sp_op_CI_CI.kd
    .uniform_work_group_size: 1
    .uses_dynamic_stack: false
    .vgpr_count:     218
    .vgpr_spill_count: 0
    .wavefront_size: 32
    .workgroup_processor_mode: 1
amdhsa.target:   amdgcn-amd-amdhsa--gfx1030
amdhsa.version:
  - 1
  - 2
...

	.end_amdgpu_metadata
